;; amdgpu-corpus repo=ROCm/composable_kernel kind=compiled arch=gfx1201 opt=O3
	.amdgcn_target "amdgcn-amd-amdhsa--gfx1201"
	.amdhsa_code_object_version 6
	.section	.text._ZN2ckL12flush_icacheEv,"axG",@progbits,_ZN2ckL12flush_icacheEv,comdat
	.globl	_ZN2ckL12flush_icacheEv         ; -- Begin function _ZN2ckL12flush_icacheEv
	.p2align	8
	.type	_ZN2ckL12flush_icacheEv,@function
_ZN2ckL12flush_icacheEv:                ; @_ZN2ckL12flush_icacheEv
; %bb.0:
	;;#ASMSTART
	s_icache_inv 
	s_nop 0 
	s_nop 0 
	;; [unrolled: 1-line block ×16, first 2 shown]
	
	;;#ASMEND
	s_endpgm
	.section	.rodata,"a",@progbits
	.p2align	6, 0x0
	.amdhsa_kernel _ZN2ckL12flush_icacheEv
		.amdhsa_group_segment_fixed_size 0
		.amdhsa_private_segment_fixed_size 0
		.amdhsa_kernarg_size 0
		.amdhsa_user_sgpr_count 0
		.amdhsa_user_sgpr_dispatch_ptr 0
		.amdhsa_user_sgpr_queue_ptr 0
		.amdhsa_user_sgpr_kernarg_segment_ptr 0
		.amdhsa_user_sgpr_dispatch_id 0
		.amdhsa_user_sgpr_private_segment_size 0
		.amdhsa_wavefront_size32 1
		.amdhsa_uses_dynamic_stack 0
		.amdhsa_enable_private_segment 0
		.amdhsa_system_sgpr_workgroup_id_x 1
		.amdhsa_system_sgpr_workgroup_id_y 0
		.amdhsa_system_sgpr_workgroup_id_z 0
		.amdhsa_system_sgpr_workgroup_info 0
		.amdhsa_system_vgpr_workitem_id 0
		.amdhsa_next_free_vgpr 1
		.amdhsa_next_free_sgpr 1
		.amdhsa_reserve_vcc 0
		.amdhsa_float_round_mode_32 0
		.amdhsa_float_round_mode_16_64 0
		.amdhsa_float_denorm_mode_32 3
		.amdhsa_float_denorm_mode_16_64 3
		.amdhsa_fp16_overflow 0
		.amdhsa_workgroup_processor_mode 1
		.amdhsa_memory_ordered 1
		.amdhsa_forward_progress 1
		.amdhsa_inst_pref_size 1
		.amdhsa_round_robin_scheduling 0
		.amdhsa_exception_fp_ieee_invalid_op 0
		.amdhsa_exception_fp_denorm_src 0
		.amdhsa_exception_fp_ieee_div_zero 0
		.amdhsa_exception_fp_ieee_overflow 0
		.amdhsa_exception_fp_ieee_underflow 0
		.amdhsa_exception_fp_ieee_inexact 0
		.amdhsa_exception_int_div_zero 0
	.end_amdhsa_kernel
	.section	.text._ZN2ckL12flush_icacheEv,"axG",@progbits,_ZN2ckL12flush_icacheEv,comdat
.Lfunc_end0:
	.size	_ZN2ckL12flush_icacheEv, .Lfunc_end0-_ZN2ckL12flush_icacheEv
                                        ; -- End function
	.set _ZN2ckL12flush_icacheEv.num_vgpr, 0
	.set _ZN2ckL12flush_icacheEv.num_agpr, 0
	.set _ZN2ckL12flush_icacheEv.numbered_sgpr, 0
	.set _ZN2ckL12flush_icacheEv.num_named_barrier, 0
	.set _ZN2ckL12flush_icacheEv.private_seg_size, 0
	.set _ZN2ckL12flush_icacheEv.uses_vcc, 0
	.set _ZN2ckL12flush_icacheEv.uses_flat_scratch, 0
	.set _ZN2ckL12flush_icacheEv.has_dyn_sized_stack, 0
	.set _ZN2ckL12flush_icacheEv.has_recursion, 0
	.set _ZN2ckL12flush_icacheEv.has_indirect_call, 0
	.section	.AMDGPU.csdata,"",@progbits
; Kernel info:
; codeLenInByte = 4
; TotalNumSgprs: 0
; NumVgprs: 0
; ScratchSize: 0
; MemoryBound: 0
; FloatMode: 240
; IeeeMode: 1
; LDSByteSize: 0 bytes/workgroup (compile time only)
; SGPRBlocks: 0
; VGPRBlocks: 0
; NumSGPRsForWavesPerEU: 1
; NumVGPRsForWavesPerEU: 1
; Occupancy: 16
; WaveLimiterHint : 0
; COMPUTE_PGM_RSRC2:SCRATCH_EN: 0
; COMPUTE_PGM_RSRC2:USER_SGPR: 0
; COMPUTE_PGM_RSRC2:TRAP_HANDLER: 0
; COMPUTE_PGM_RSRC2:TGID_X_EN: 1
; COMPUTE_PGM_RSRC2:TGID_Y_EN: 0
; COMPUTE_PGM_RSRC2:TGID_Z_EN: 0
; COMPUTE_PGM_RSRC2:TIDIG_COMP_CNT: 0
	.section	.text._ZN2ck27kernel_gemm_xdl_cshuffle_v1INS_43GridwiseGemm_k0mk1_k0nk1_mn_xdl_cshuffle_v1INS_13tensor_layout4gemm8RowMajorENS3_11ColumnMajorES4_NS_9f8_fnuz_tEDF16_fDF16_DF16_NS_16tensor_operation12element_wise11PassThroughES9_S9_LNS7_6device18GemmSpecializationE0ELNS_25InMemoryDataOperationEnumE0ELi1ELi256ELi256ELi128ELi32ELi8ELi8ELi16ELi16ELi8ELi4ENS_8SequenceIJLi4ELi64ELi1EEEENSD_IJLi1ELi0ELi2EEEESF_Li2ELi8ELi8ELb0ELi1ESE_SF_SF_Li2ELi8ELi8ELb0ELi1ELi1ELi1ENSD_IJLi1ELi32ELi1ELi8EEEELi4ELNS_13LoopSchedulerE0ELNS_15PipelineVersionE0EDF16_DF16_EELb1EEEvNT_8ArgumentE,"axG",@progbits,_ZN2ck27kernel_gemm_xdl_cshuffle_v1INS_43GridwiseGemm_k0mk1_k0nk1_mn_xdl_cshuffle_v1INS_13tensor_layout4gemm8RowMajorENS3_11ColumnMajorES4_NS_9f8_fnuz_tEDF16_fDF16_DF16_NS_16tensor_operation12element_wise11PassThroughES9_S9_LNS7_6device18GemmSpecializationE0ELNS_25InMemoryDataOperationEnumE0ELi1ELi256ELi256ELi128ELi32ELi8ELi8ELi16ELi16ELi8ELi4ENS_8SequenceIJLi4ELi64ELi1EEEENSD_IJLi1ELi0ELi2EEEESF_Li2ELi8ELi8ELb0ELi1ESE_SF_SF_Li2ELi8ELi8ELb0ELi1ELi1ELi1ENSD_IJLi1ELi32ELi1ELi8EEEELi4ELNS_13LoopSchedulerE0ELNS_15PipelineVersionE0EDF16_DF16_EELb1EEEvNT_8ArgumentE,comdat
	.protected	_ZN2ck27kernel_gemm_xdl_cshuffle_v1INS_43GridwiseGemm_k0mk1_k0nk1_mn_xdl_cshuffle_v1INS_13tensor_layout4gemm8RowMajorENS3_11ColumnMajorES4_NS_9f8_fnuz_tEDF16_fDF16_DF16_NS_16tensor_operation12element_wise11PassThroughES9_S9_LNS7_6device18GemmSpecializationE0ELNS_25InMemoryDataOperationEnumE0ELi1ELi256ELi256ELi128ELi32ELi8ELi8ELi16ELi16ELi8ELi4ENS_8SequenceIJLi4ELi64ELi1EEEENSD_IJLi1ELi0ELi2EEEESF_Li2ELi8ELi8ELb0ELi1ESE_SF_SF_Li2ELi8ELi8ELb0ELi1ELi1ELi1ENSD_IJLi1ELi32ELi1ELi8EEEELi4ELNS_13LoopSchedulerE0ELNS_15PipelineVersionE0EDF16_DF16_EELb1EEEvNT_8ArgumentE ; -- Begin function _ZN2ck27kernel_gemm_xdl_cshuffle_v1INS_43GridwiseGemm_k0mk1_k0nk1_mn_xdl_cshuffle_v1INS_13tensor_layout4gemm8RowMajorENS3_11ColumnMajorES4_NS_9f8_fnuz_tEDF16_fDF16_DF16_NS_16tensor_operation12element_wise11PassThroughES9_S9_LNS7_6device18GemmSpecializationE0ELNS_25InMemoryDataOperationEnumE0ELi1ELi256ELi256ELi128ELi32ELi8ELi8ELi16ELi16ELi8ELi4ENS_8SequenceIJLi4ELi64ELi1EEEENSD_IJLi1ELi0ELi2EEEESF_Li2ELi8ELi8ELb0ELi1ESE_SF_SF_Li2ELi8ELi8ELb0ELi1ELi1ELi1ENSD_IJLi1ELi32ELi1ELi8EEEELi4ELNS_13LoopSchedulerE0ELNS_15PipelineVersionE0EDF16_DF16_EELb1EEEvNT_8ArgumentE
	.globl	_ZN2ck27kernel_gemm_xdl_cshuffle_v1INS_43GridwiseGemm_k0mk1_k0nk1_mn_xdl_cshuffle_v1INS_13tensor_layout4gemm8RowMajorENS3_11ColumnMajorES4_NS_9f8_fnuz_tEDF16_fDF16_DF16_NS_16tensor_operation12element_wise11PassThroughES9_S9_LNS7_6device18GemmSpecializationE0ELNS_25InMemoryDataOperationEnumE0ELi1ELi256ELi256ELi128ELi32ELi8ELi8ELi16ELi16ELi8ELi4ENS_8SequenceIJLi4ELi64ELi1EEEENSD_IJLi1ELi0ELi2EEEESF_Li2ELi8ELi8ELb0ELi1ESE_SF_SF_Li2ELi8ELi8ELb0ELi1ELi1ELi1ENSD_IJLi1ELi32ELi1ELi8EEEELi4ELNS_13LoopSchedulerE0ELNS_15PipelineVersionE0EDF16_DF16_EELb1EEEvNT_8ArgumentE
	.p2align	8
	.type	_ZN2ck27kernel_gemm_xdl_cshuffle_v1INS_43GridwiseGemm_k0mk1_k0nk1_mn_xdl_cshuffle_v1INS_13tensor_layout4gemm8RowMajorENS3_11ColumnMajorES4_NS_9f8_fnuz_tEDF16_fDF16_DF16_NS_16tensor_operation12element_wise11PassThroughES9_S9_LNS7_6device18GemmSpecializationE0ELNS_25InMemoryDataOperationEnumE0ELi1ELi256ELi256ELi128ELi32ELi8ELi8ELi16ELi16ELi8ELi4ENS_8SequenceIJLi4ELi64ELi1EEEENSD_IJLi1ELi0ELi2EEEESF_Li2ELi8ELi8ELb0ELi1ESE_SF_SF_Li2ELi8ELi8ELb0ELi1ELi1ELi1ENSD_IJLi1ELi32ELi1ELi8EEEELi4ELNS_13LoopSchedulerE0ELNS_15PipelineVersionE0EDF16_DF16_EELb1EEEvNT_8ArgumentE,@function
_ZN2ck27kernel_gemm_xdl_cshuffle_v1INS_43GridwiseGemm_k0mk1_k0nk1_mn_xdl_cshuffle_v1INS_13tensor_layout4gemm8RowMajorENS3_11ColumnMajorES4_NS_9f8_fnuz_tEDF16_fDF16_DF16_NS_16tensor_operation12element_wise11PassThroughES9_S9_LNS7_6device18GemmSpecializationE0ELNS_25InMemoryDataOperationEnumE0ELi1ELi256ELi256ELi128ELi32ELi8ELi8ELi16ELi16ELi8ELi4ENS_8SequenceIJLi4ELi64ELi1EEEENSD_IJLi1ELi0ELi2EEEESF_Li2ELi8ELi8ELb0ELi1ESE_SF_SF_Li2ELi8ELi8ELb0ELi1ELi1ELi1ENSD_IJLi1ELi32ELi1ELi8EEEELi4ELNS_13LoopSchedulerE0ELNS_15PipelineVersionE0EDF16_DF16_EELb1EEEvNT_8ArgumentE: ; @_ZN2ck27kernel_gemm_xdl_cshuffle_v1INS_43GridwiseGemm_k0mk1_k0nk1_mn_xdl_cshuffle_v1INS_13tensor_layout4gemm8RowMajorENS3_11ColumnMajorES4_NS_9f8_fnuz_tEDF16_fDF16_DF16_NS_16tensor_operation12element_wise11PassThroughES9_S9_LNS7_6device18GemmSpecializationE0ELNS_25InMemoryDataOperationEnumE0ELi1ELi256ELi256ELi128ELi32ELi8ELi8ELi16ELi16ELi8ELi4ENS_8SequenceIJLi4ELi64ELi1EEEENSD_IJLi1ELi0ELi2EEEESF_Li2ELi8ELi8ELb0ELi1ESE_SF_SF_Li2ELi8ELi8ELb0ELi1ELi1ELi1ENSD_IJLi1ELi32ELi1ELi8EEEELi4ELNS_13LoopSchedulerE0ELNS_15PipelineVersionE0EDF16_DF16_EELb1EEEvNT_8ArgumentE
; %bb.0:
	s_endpgm
	.section	.rodata,"a",@progbits
	.p2align	6, 0x0
	.amdhsa_kernel _ZN2ck27kernel_gemm_xdl_cshuffle_v1INS_43GridwiseGemm_k0mk1_k0nk1_mn_xdl_cshuffle_v1INS_13tensor_layout4gemm8RowMajorENS3_11ColumnMajorES4_NS_9f8_fnuz_tEDF16_fDF16_DF16_NS_16tensor_operation12element_wise11PassThroughES9_S9_LNS7_6device18GemmSpecializationE0ELNS_25InMemoryDataOperationEnumE0ELi1ELi256ELi256ELi128ELi32ELi8ELi8ELi16ELi16ELi8ELi4ENS_8SequenceIJLi4ELi64ELi1EEEENSD_IJLi1ELi0ELi2EEEESF_Li2ELi8ELi8ELb0ELi1ESE_SF_SF_Li2ELi8ELi8ELb0ELi1ELi1ELi1ENSD_IJLi1ELi32ELi1ELi8EEEELi4ELNS_13LoopSchedulerE0ELNS_15PipelineVersionE0EDF16_DF16_EELb1EEEvNT_8ArgumentE
		.amdhsa_group_segment_fixed_size 0
		.amdhsa_private_segment_fixed_size 0
		.amdhsa_kernarg_size 96
		.amdhsa_user_sgpr_count 2
		.amdhsa_user_sgpr_dispatch_ptr 0
		.amdhsa_user_sgpr_queue_ptr 0
		.amdhsa_user_sgpr_kernarg_segment_ptr 1
		.amdhsa_user_sgpr_dispatch_id 0
		.amdhsa_user_sgpr_private_segment_size 0
		.amdhsa_wavefront_size32 1
		.amdhsa_uses_dynamic_stack 0
		.amdhsa_enable_private_segment 0
		.amdhsa_system_sgpr_workgroup_id_x 1
		.amdhsa_system_sgpr_workgroup_id_y 0
		.amdhsa_system_sgpr_workgroup_id_z 0
		.amdhsa_system_sgpr_workgroup_info 0
		.amdhsa_system_vgpr_workitem_id 0
		.amdhsa_next_free_vgpr 1
		.amdhsa_next_free_sgpr 1
		.amdhsa_reserve_vcc 0
		.amdhsa_float_round_mode_32 0
		.amdhsa_float_round_mode_16_64 0
		.amdhsa_float_denorm_mode_32 3
		.amdhsa_float_denorm_mode_16_64 3
		.amdhsa_fp16_overflow 0
		.amdhsa_workgroup_processor_mode 1
		.amdhsa_memory_ordered 1
		.amdhsa_forward_progress 1
		.amdhsa_inst_pref_size 1
		.amdhsa_round_robin_scheduling 0
		.amdhsa_exception_fp_ieee_invalid_op 0
		.amdhsa_exception_fp_denorm_src 0
		.amdhsa_exception_fp_ieee_div_zero 0
		.amdhsa_exception_fp_ieee_overflow 0
		.amdhsa_exception_fp_ieee_underflow 0
		.amdhsa_exception_fp_ieee_inexact 0
		.amdhsa_exception_int_div_zero 0
	.end_amdhsa_kernel
	.section	.text._ZN2ck27kernel_gemm_xdl_cshuffle_v1INS_43GridwiseGemm_k0mk1_k0nk1_mn_xdl_cshuffle_v1INS_13tensor_layout4gemm8RowMajorENS3_11ColumnMajorES4_NS_9f8_fnuz_tEDF16_fDF16_DF16_NS_16tensor_operation12element_wise11PassThroughES9_S9_LNS7_6device18GemmSpecializationE0ELNS_25InMemoryDataOperationEnumE0ELi1ELi256ELi256ELi128ELi32ELi8ELi8ELi16ELi16ELi8ELi4ENS_8SequenceIJLi4ELi64ELi1EEEENSD_IJLi1ELi0ELi2EEEESF_Li2ELi8ELi8ELb0ELi1ESE_SF_SF_Li2ELi8ELi8ELb0ELi1ELi1ELi1ENSD_IJLi1ELi32ELi1ELi8EEEELi4ELNS_13LoopSchedulerE0ELNS_15PipelineVersionE0EDF16_DF16_EELb1EEEvNT_8ArgumentE,"axG",@progbits,_ZN2ck27kernel_gemm_xdl_cshuffle_v1INS_43GridwiseGemm_k0mk1_k0nk1_mn_xdl_cshuffle_v1INS_13tensor_layout4gemm8RowMajorENS3_11ColumnMajorES4_NS_9f8_fnuz_tEDF16_fDF16_DF16_NS_16tensor_operation12element_wise11PassThroughES9_S9_LNS7_6device18GemmSpecializationE0ELNS_25InMemoryDataOperationEnumE0ELi1ELi256ELi256ELi128ELi32ELi8ELi8ELi16ELi16ELi8ELi4ENS_8SequenceIJLi4ELi64ELi1EEEENSD_IJLi1ELi0ELi2EEEESF_Li2ELi8ELi8ELb0ELi1ESE_SF_SF_Li2ELi8ELi8ELb0ELi1ELi1ELi1ENSD_IJLi1ELi32ELi1ELi8EEEELi4ELNS_13LoopSchedulerE0ELNS_15PipelineVersionE0EDF16_DF16_EELb1EEEvNT_8ArgumentE,comdat
.Lfunc_end1:
	.size	_ZN2ck27kernel_gemm_xdl_cshuffle_v1INS_43GridwiseGemm_k0mk1_k0nk1_mn_xdl_cshuffle_v1INS_13tensor_layout4gemm8RowMajorENS3_11ColumnMajorES4_NS_9f8_fnuz_tEDF16_fDF16_DF16_NS_16tensor_operation12element_wise11PassThroughES9_S9_LNS7_6device18GemmSpecializationE0ELNS_25InMemoryDataOperationEnumE0ELi1ELi256ELi256ELi128ELi32ELi8ELi8ELi16ELi16ELi8ELi4ENS_8SequenceIJLi4ELi64ELi1EEEENSD_IJLi1ELi0ELi2EEEESF_Li2ELi8ELi8ELb0ELi1ESE_SF_SF_Li2ELi8ELi8ELb0ELi1ELi1ELi1ENSD_IJLi1ELi32ELi1ELi8EEEELi4ELNS_13LoopSchedulerE0ELNS_15PipelineVersionE0EDF16_DF16_EELb1EEEvNT_8ArgumentE, .Lfunc_end1-_ZN2ck27kernel_gemm_xdl_cshuffle_v1INS_43GridwiseGemm_k0mk1_k0nk1_mn_xdl_cshuffle_v1INS_13tensor_layout4gemm8RowMajorENS3_11ColumnMajorES4_NS_9f8_fnuz_tEDF16_fDF16_DF16_NS_16tensor_operation12element_wise11PassThroughES9_S9_LNS7_6device18GemmSpecializationE0ELNS_25InMemoryDataOperationEnumE0ELi1ELi256ELi256ELi128ELi32ELi8ELi8ELi16ELi16ELi8ELi4ENS_8SequenceIJLi4ELi64ELi1EEEENSD_IJLi1ELi0ELi2EEEESF_Li2ELi8ELi8ELb0ELi1ESE_SF_SF_Li2ELi8ELi8ELb0ELi1ELi1ELi1ENSD_IJLi1ELi32ELi1ELi8EEEELi4ELNS_13LoopSchedulerE0ELNS_15PipelineVersionE0EDF16_DF16_EELb1EEEvNT_8ArgumentE
                                        ; -- End function
	.set _ZN2ck27kernel_gemm_xdl_cshuffle_v1INS_43GridwiseGemm_k0mk1_k0nk1_mn_xdl_cshuffle_v1INS_13tensor_layout4gemm8RowMajorENS3_11ColumnMajorES4_NS_9f8_fnuz_tEDF16_fDF16_DF16_NS_16tensor_operation12element_wise11PassThroughES9_S9_LNS7_6device18GemmSpecializationE0ELNS_25InMemoryDataOperationEnumE0ELi1ELi256ELi256ELi128ELi32ELi8ELi8ELi16ELi16ELi8ELi4ENS_8SequenceIJLi4ELi64ELi1EEEENSD_IJLi1ELi0ELi2EEEESF_Li2ELi8ELi8ELb0ELi1ESE_SF_SF_Li2ELi8ELi8ELb0ELi1ELi1ELi1ENSD_IJLi1ELi32ELi1ELi8EEEELi4ELNS_13LoopSchedulerE0ELNS_15PipelineVersionE0EDF16_DF16_EELb1EEEvNT_8ArgumentE.num_vgpr, 0
	.set _ZN2ck27kernel_gemm_xdl_cshuffle_v1INS_43GridwiseGemm_k0mk1_k0nk1_mn_xdl_cshuffle_v1INS_13tensor_layout4gemm8RowMajorENS3_11ColumnMajorES4_NS_9f8_fnuz_tEDF16_fDF16_DF16_NS_16tensor_operation12element_wise11PassThroughES9_S9_LNS7_6device18GemmSpecializationE0ELNS_25InMemoryDataOperationEnumE0ELi1ELi256ELi256ELi128ELi32ELi8ELi8ELi16ELi16ELi8ELi4ENS_8SequenceIJLi4ELi64ELi1EEEENSD_IJLi1ELi0ELi2EEEESF_Li2ELi8ELi8ELb0ELi1ESE_SF_SF_Li2ELi8ELi8ELb0ELi1ELi1ELi1ENSD_IJLi1ELi32ELi1ELi8EEEELi4ELNS_13LoopSchedulerE0ELNS_15PipelineVersionE0EDF16_DF16_EELb1EEEvNT_8ArgumentE.num_agpr, 0
	.set _ZN2ck27kernel_gemm_xdl_cshuffle_v1INS_43GridwiseGemm_k0mk1_k0nk1_mn_xdl_cshuffle_v1INS_13tensor_layout4gemm8RowMajorENS3_11ColumnMajorES4_NS_9f8_fnuz_tEDF16_fDF16_DF16_NS_16tensor_operation12element_wise11PassThroughES9_S9_LNS7_6device18GemmSpecializationE0ELNS_25InMemoryDataOperationEnumE0ELi1ELi256ELi256ELi128ELi32ELi8ELi8ELi16ELi16ELi8ELi4ENS_8SequenceIJLi4ELi64ELi1EEEENSD_IJLi1ELi0ELi2EEEESF_Li2ELi8ELi8ELb0ELi1ESE_SF_SF_Li2ELi8ELi8ELb0ELi1ELi1ELi1ENSD_IJLi1ELi32ELi1ELi8EEEELi4ELNS_13LoopSchedulerE0ELNS_15PipelineVersionE0EDF16_DF16_EELb1EEEvNT_8ArgumentE.numbered_sgpr, 0
	.set _ZN2ck27kernel_gemm_xdl_cshuffle_v1INS_43GridwiseGemm_k0mk1_k0nk1_mn_xdl_cshuffle_v1INS_13tensor_layout4gemm8RowMajorENS3_11ColumnMajorES4_NS_9f8_fnuz_tEDF16_fDF16_DF16_NS_16tensor_operation12element_wise11PassThroughES9_S9_LNS7_6device18GemmSpecializationE0ELNS_25InMemoryDataOperationEnumE0ELi1ELi256ELi256ELi128ELi32ELi8ELi8ELi16ELi16ELi8ELi4ENS_8SequenceIJLi4ELi64ELi1EEEENSD_IJLi1ELi0ELi2EEEESF_Li2ELi8ELi8ELb0ELi1ESE_SF_SF_Li2ELi8ELi8ELb0ELi1ELi1ELi1ENSD_IJLi1ELi32ELi1ELi8EEEELi4ELNS_13LoopSchedulerE0ELNS_15PipelineVersionE0EDF16_DF16_EELb1EEEvNT_8ArgumentE.num_named_barrier, 0
	.set _ZN2ck27kernel_gemm_xdl_cshuffle_v1INS_43GridwiseGemm_k0mk1_k0nk1_mn_xdl_cshuffle_v1INS_13tensor_layout4gemm8RowMajorENS3_11ColumnMajorES4_NS_9f8_fnuz_tEDF16_fDF16_DF16_NS_16tensor_operation12element_wise11PassThroughES9_S9_LNS7_6device18GemmSpecializationE0ELNS_25InMemoryDataOperationEnumE0ELi1ELi256ELi256ELi128ELi32ELi8ELi8ELi16ELi16ELi8ELi4ENS_8SequenceIJLi4ELi64ELi1EEEENSD_IJLi1ELi0ELi2EEEESF_Li2ELi8ELi8ELb0ELi1ESE_SF_SF_Li2ELi8ELi8ELb0ELi1ELi1ELi1ENSD_IJLi1ELi32ELi1ELi8EEEELi4ELNS_13LoopSchedulerE0ELNS_15PipelineVersionE0EDF16_DF16_EELb1EEEvNT_8ArgumentE.private_seg_size, 0
	.set _ZN2ck27kernel_gemm_xdl_cshuffle_v1INS_43GridwiseGemm_k0mk1_k0nk1_mn_xdl_cshuffle_v1INS_13tensor_layout4gemm8RowMajorENS3_11ColumnMajorES4_NS_9f8_fnuz_tEDF16_fDF16_DF16_NS_16tensor_operation12element_wise11PassThroughES9_S9_LNS7_6device18GemmSpecializationE0ELNS_25InMemoryDataOperationEnumE0ELi1ELi256ELi256ELi128ELi32ELi8ELi8ELi16ELi16ELi8ELi4ENS_8SequenceIJLi4ELi64ELi1EEEENSD_IJLi1ELi0ELi2EEEESF_Li2ELi8ELi8ELb0ELi1ESE_SF_SF_Li2ELi8ELi8ELb0ELi1ELi1ELi1ENSD_IJLi1ELi32ELi1ELi8EEEELi4ELNS_13LoopSchedulerE0ELNS_15PipelineVersionE0EDF16_DF16_EELb1EEEvNT_8ArgumentE.uses_vcc, 0
	.set _ZN2ck27kernel_gemm_xdl_cshuffle_v1INS_43GridwiseGemm_k0mk1_k0nk1_mn_xdl_cshuffle_v1INS_13tensor_layout4gemm8RowMajorENS3_11ColumnMajorES4_NS_9f8_fnuz_tEDF16_fDF16_DF16_NS_16tensor_operation12element_wise11PassThroughES9_S9_LNS7_6device18GemmSpecializationE0ELNS_25InMemoryDataOperationEnumE0ELi1ELi256ELi256ELi128ELi32ELi8ELi8ELi16ELi16ELi8ELi4ENS_8SequenceIJLi4ELi64ELi1EEEENSD_IJLi1ELi0ELi2EEEESF_Li2ELi8ELi8ELb0ELi1ESE_SF_SF_Li2ELi8ELi8ELb0ELi1ELi1ELi1ENSD_IJLi1ELi32ELi1ELi8EEEELi4ELNS_13LoopSchedulerE0ELNS_15PipelineVersionE0EDF16_DF16_EELb1EEEvNT_8ArgumentE.uses_flat_scratch, 0
	.set _ZN2ck27kernel_gemm_xdl_cshuffle_v1INS_43GridwiseGemm_k0mk1_k0nk1_mn_xdl_cshuffle_v1INS_13tensor_layout4gemm8RowMajorENS3_11ColumnMajorES4_NS_9f8_fnuz_tEDF16_fDF16_DF16_NS_16tensor_operation12element_wise11PassThroughES9_S9_LNS7_6device18GemmSpecializationE0ELNS_25InMemoryDataOperationEnumE0ELi1ELi256ELi256ELi128ELi32ELi8ELi8ELi16ELi16ELi8ELi4ENS_8SequenceIJLi4ELi64ELi1EEEENSD_IJLi1ELi0ELi2EEEESF_Li2ELi8ELi8ELb0ELi1ESE_SF_SF_Li2ELi8ELi8ELb0ELi1ELi1ELi1ENSD_IJLi1ELi32ELi1ELi8EEEELi4ELNS_13LoopSchedulerE0ELNS_15PipelineVersionE0EDF16_DF16_EELb1EEEvNT_8ArgumentE.has_dyn_sized_stack, 0
	.set _ZN2ck27kernel_gemm_xdl_cshuffle_v1INS_43GridwiseGemm_k0mk1_k0nk1_mn_xdl_cshuffle_v1INS_13tensor_layout4gemm8RowMajorENS3_11ColumnMajorES4_NS_9f8_fnuz_tEDF16_fDF16_DF16_NS_16tensor_operation12element_wise11PassThroughES9_S9_LNS7_6device18GemmSpecializationE0ELNS_25InMemoryDataOperationEnumE0ELi1ELi256ELi256ELi128ELi32ELi8ELi8ELi16ELi16ELi8ELi4ENS_8SequenceIJLi4ELi64ELi1EEEENSD_IJLi1ELi0ELi2EEEESF_Li2ELi8ELi8ELb0ELi1ESE_SF_SF_Li2ELi8ELi8ELb0ELi1ELi1ELi1ENSD_IJLi1ELi32ELi1ELi8EEEELi4ELNS_13LoopSchedulerE0ELNS_15PipelineVersionE0EDF16_DF16_EELb1EEEvNT_8ArgumentE.has_recursion, 0
	.set _ZN2ck27kernel_gemm_xdl_cshuffle_v1INS_43GridwiseGemm_k0mk1_k0nk1_mn_xdl_cshuffle_v1INS_13tensor_layout4gemm8RowMajorENS3_11ColumnMajorES4_NS_9f8_fnuz_tEDF16_fDF16_DF16_NS_16tensor_operation12element_wise11PassThroughES9_S9_LNS7_6device18GemmSpecializationE0ELNS_25InMemoryDataOperationEnumE0ELi1ELi256ELi256ELi128ELi32ELi8ELi8ELi16ELi16ELi8ELi4ENS_8SequenceIJLi4ELi64ELi1EEEENSD_IJLi1ELi0ELi2EEEESF_Li2ELi8ELi8ELb0ELi1ESE_SF_SF_Li2ELi8ELi8ELb0ELi1ELi1ELi1ENSD_IJLi1ELi32ELi1ELi8EEEELi4ELNS_13LoopSchedulerE0ELNS_15PipelineVersionE0EDF16_DF16_EELb1EEEvNT_8ArgumentE.has_indirect_call, 0
	.section	.AMDGPU.csdata,"",@progbits
; Kernel info:
; codeLenInByte = 4
; TotalNumSgprs: 0
; NumVgprs: 0
; ScratchSize: 0
; MemoryBound: 0
; FloatMode: 240
; IeeeMode: 1
; LDSByteSize: 0 bytes/workgroup (compile time only)
; SGPRBlocks: 0
; VGPRBlocks: 0
; NumSGPRsForWavesPerEU: 1
; NumVGPRsForWavesPerEU: 1
; Occupancy: 16
; WaveLimiterHint : 0
; COMPUTE_PGM_RSRC2:SCRATCH_EN: 0
; COMPUTE_PGM_RSRC2:USER_SGPR: 2
; COMPUTE_PGM_RSRC2:TRAP_HANDLER: 0
; COMPUTE_PGM_RSRC2:TGID_X_EN: 1
; COMPUTE_PGM_RSRC2:TGID_Y_EN: 0
; COMPUTE_PGM_RSRC2:TGID_Z_EN: 0
; COMPUTE_PGM_RSRC2:TIDIG_COMP_CNT: 0
	.section	.text._ZN2ck27kernel_gemm_xdl_cshuffle_v1INS_43GridwiseGemm_k0mk1_k0nk1_mn_xdl_cshuffle_v1INS_13tensor_layout4gemm8RowMajorENS3_11ColumnMajorES4_NS_9f8_fnuz_tEDF16_fDF16_DF16_NS_16tensor_operation12element_wise11PassThroughES9_S9_LNS7_6device18GemmSpecializationE0ELNS_25InMemoryDataOperationEnumE0ELi1ELi256ELi256ELi128ELi32ELi8ELi8ELi16ELi16ELi8ELi4ENS_8SequenceIJLi4ELi64ELi1EEEENSD_IJLi1ELi0ELi2EEEESF_Li2ELi8ELi8ELb0ELi1ESE_SF_SF_Li2ELi8ELi8ELb0ELi1ELi1ELi1ENSD_IJLi1ELi32ELi1ELi8EEEELi4ELNS_13LoopSchedulerE0ELNS_15PipelineVersionE0EDF16_DF16_EELb0EEEvNT_8ArgumentE,"axG",@progbits,_ZN2ck27kernel_gemm_xdl_cshuffle_v1INS_43GridwiseGemm_k0mk1_k0nk1_mn_xdl_cshuffle_v1INS_13tensor_layout4gemm8RowMajorENS3_11ColumnMajorES4_NS_9f8_fnuz_tEDF16_fDF16_DF16_NS_16tensor_operation12element_wise11PassThroughES9_S9_LNS7_6device18GemmSpecializationE0ELNS_25InMemoryDataOperationEnumE0ELi1ELi256ELi256ELi128ELi32ELi8ELi8ELi16ELi16ELi8ELi4ENS_8SequenceIJLi4ELi64ELi1EEEENSD_IJLi1ELi0ELi2EEEESF_Li2ELi8ELi8ELb0ELi1ESE_SF_SF_Li2ELi8ELi8ELb0ELi1ELi1ELi1ENSD_IJLi1ELi32ELi1ELi8EEEELi4ELNS_13LoopSchedulerE0ELNS_15PipelineVersionE0EDF16_DF16_EELb0EEEvNT_8ArgumentE,comdat
	.protected	_ZN2ck27kernel_gemm_xdl_cshuffle_v1INS_43GridwiseGemm_k0mk1_k0nk1_mn_xdl_cshuffle_v1INS_13tensor_layout4gemm8RowMajorENS3_11ColumnMajorES4_NS_9f8_fnuz_tEDF16_fDF16_DF16_NS_16tensor_operation12element_wise11PassThroughES9_S9_LNS7_6device18GemmSpecializationE0ELNS_25InMemoryDataOperationEnumE0ELi1ELi256ELi256ELi128ELi32ELi8ELi8ELi16ELi16ELi8ELi4ENS_8SequenceIJLi4ELi64ELi1EEEENSD_IJLi1ELi0ELi2EEEESF_Li2ELi8ELi8ELb0ELi1ESE_SF_SF_Li2ELi8ELi8ELb0ELi1ELi1ELi1ENSD_IJLi1ELi32ELi1ELi8EEEELi4ELNS_13LoopSchedulerE0ELNS_15PipelineVersionE0EDF16_DF16_EELb0EEEvNT_8ArgumentE ; -- Begin function _ZN2ck27kernel_gemm_xdl_cshuffle_v1INS_43GridwiseGemm_k0mk1_k0nk1_mn_xdl_cshuffle_v1INS_13tensor_layout4gemm8RowMajorENS3_11ColumnMajorES4_NS_9f8_fnuz_tEDF16_fDF16_DF16_NS_16tensor_operation12element_wise11PassThroughES9_S9_LNS7_6device18GemmSpecializationE0ELNS_25InMemoryDataOperationEnumE0ELi1ELi256ELi256ELi128ELi32ELi8ELi8ELi16ELi16ELi8ELi4ENS_8SequenceIJLi4ELi64ELi1EEEENSD_IJLi1ELi0ELi2EEEESF_Li2ELi8ELi8ELb0ELi1ESE_SF_SF_Li2ELi8ELi8ELb0ELi1ELi1ELi1ENSD_IJLi1ELi32ELi1ELi8EEEELi4ELNS_13LoopSchedulerE0ELNS_15PipelineVersionE0EDF16_DF16_EELb0EEEvNT_8ArgumentE
	.globl	_ZN2ck27kernel_gemm_xdl_cshuffle_v1INS_43GridwiseGemm_k0mk1_k0nk1_mn_xdl_cshuffle_v1INS_13tensor_layout4gemm8RowMajorENS3_11ColumnMajorES4_NS_9f8_fnuz_tEDF16_fDF16_DF16_NS_16tensor_operation12element_wise11PassThroughES9_S9_LNS7_6device18GemmSpecializationE0ELNS_25InMemoryDataOperationEnumE0ELi1ELi256ELi256ELi128ELi32ELi8ELi8ELi16ELi16ELi8ELi4ENS_8SequenceIJLi4ELi64ELi1EEEENSD_IJLi1ELi0ELi2EEEESF_Li2ELi8ELi8ELb0ELi1ESE_SF_SF_Li2ELi8ELi8ELb0ELi1ELi1ELi1ENSD_IJLi1ELi32ELi1ELi8EEEELi4ELNS_13LoopSchedulerE0ELNS_15PipelineVersionE0EDF16_DF16_EELb0EEEvNT_8ArgumentE
	.p2align	8
	.type	_ZN2ck27kernel_gemm_xdl_cshuffle_v1INS_43GridwiseGemm_k0mk1_k0nk1_mn_xdl_cshuffle_v1INS_13tensor_layout4gemm8RowMajorENS3_11ColumnMajorES4_NS_9f8_fnuz_tEDF16_fDF16_DF16_NS_16tensor_operation12element_wise11PassThroughES9_S9_LNS7_6device18GemmSpecializationE0ELNS_25InMemoryDataOperationEnumE0ELi1ELi256ELi256ELi128ELi32ELi8ELi8ELi16ELi16ELi8ELi4ENS_8SequenceIJLi4ELi64ELi1EEEENSD_IJLi1ELi0ELi2EEEESF_Li2ELi8ELi8ELb0ELi1ESE_SF_SF_Li2ELi8ELi8ELb0ELi1ELi1ELi1ENSD_IJLi1ELi32ELi1ELi8EEEELi4ELNS_13LoopSchedulerE0ELNS_15PipelineVersionE0EDF16_DF16_EELb0EEEvNT_8ArgumentE,@function
_ZN2ck27kernel_gemm_xdl_cshuffle_v1INS_43GridwiseGemm_k0mk1_k0nk1_mn_xdl_cshuffle_v1INS_13tensor_layout4gemm8RowMajorENS3_11ColumnMajorES4_NS_9f8_fnuz_tEDF16_fDF16_DF16_NS_16tensor_operation12element_wise11PassThroughES9_S9_LNS7_6device18GemmSpecializationE0ELNS_25InMemoryDataOperationEnumE0ELi1ELi256ELi256ELi128ELi32ELi8ELi8ELi16ELi16ELi8ELi4ENS_8SequenceIJLi4ELi64ELi1EEEENSD_IJLi1ELi0ELi2EEEESF_Li2ELi8ELi8ELb0ELi1ESE_SF_SF_Li2ELi8ELi8ELb0ELi1ELi1ELi1ENSD_IJLi1ELi32ELi1ELi8EEEELi4ELNS_13LoopSchedulerE0ELNS_15PipelineVersionE0EDF16_DF16_EELb0EEEvNT_8ArgumentE: ; @_ZN2ck27kernel_gemm_xdl_cshuffle_v1INS_43GridwiseGemm_k0mk1_k0nk1_mn_xdl_cshuffle_v1INS_13tensor_layout4gemm8RowMajorENS3_11ColumnMajorES4_NS_9f8_fnuz_tEDF16_fDF16_DF16_NS_16tensor_operation12element_wise11PassThroughES9_S9_LNS7_6device18GemmSpecializationE0ELNS_25InMemoryDataOperationEnumE0ELi1ELi256ELi256ELi128ELi32ELi8ELi8ELi16ELi16ELi8ELi4ENS_8SequenceIJLi4ELi64ELi1EEEENSD_IJLi1ELi0ELi2EEEESF_Li2ELi8ELi8ELb0ELi1ESE_SF_SF_Li2ELi8ELi8ELb0ELi1ELi1ELi1ENSD_IJLi1ELi32ELi1ELi8EEEELi4ELNS_13LoopSchedulerE0ELNS_15PipelineVersionE0EDF16_DF16_EELb0EEEvNT_8ArgumentE
; %bb.0:
	s_endpgm
	.section	.rodata,"a",@progbits
	.p2align	6, 0x0
	.amdhsa_kernel _ZN2ck27kernel_gemm_xdl_cshuffle_v1INS_43GridwiseGemm_k0mk1_k0nk1_mn_xdl_cshuffle_v1INS_13tensor_layout4gemm8RowMajorENS3_11ColumnMajorES4_NS_9f8_fnuz_tEDF16_fDF16_DF16_NS_16tensor_operation12element_wise11PassThroughES9_S9_LNS7_6device18GemmSpecializationE0ELNS_25InMemoryDataOperationEnumE0ELi1ELi256ELi256ELi128ELi32ELi8ELi8ELi16ELi16ELi8ELi4ENS_8SequenceIJLi4ELi64ELi1EEEENSD_IJLi1ELi0ELi2EEEESF_Li2ELi8ELi8ELb0ELi1ESE_SF_SF_Li2ELi8ELi8ELb0ELi1ELi1ELi1ENSD_IJLi1ELi32ELi1ELi8EEEELi4ELNS_13LoopSchedulerE0ELNS_15PipelineVersionE0EDF16_DF16_EELb0EEEvNT_8ArgumentE
		.amdhsa_group_segment_fixed_size 0
		.amdhsa_private_segment_fixed_size 0
		.amdhsa_kernarg_size 96
		.amdhsa_user_sgpr_count 2
		.amdhsa_user_sgpr_dispatch_ptr 0
		.amdhsa_user_sgpr_queue_ptr 0
		.amdhsa_user_sgpr_kernarg_segment_ptr 1
		.amdhsa_user_sgpr_dispatch_id 0
		.amdhsa_user_sgpr_private_segment_size 0
		.amdhsa_wavefront_size32 1
		.amdhsa_uses_dynamic_stack 0
		.amdhsa_enable_private_segment 0
		.amdhsa_system_sgpr_workgroup_id_x 1
		.amdhsa_system_sgpr_workgroup_id_y 0
		.amdhsa_system_sgpr_workgroup_id_z 0
		.amdhsa_system_sgpr_workgroup_info 0
		.amdhsa_system_vgpr_workitem_id 0
		.amdhsa_next_free_vgpr 1
		.amdhsa_next_free_sgpr 1
		.amdhsa_reserve_vcc 0
		.amdhsa_float_round_mode_32 0
		.amdhsa_float_round_mode_16_64 0
		.amdhsa_float_denorm_mode_32 3
		.amdhsa_float_denorm_mode_16_64 3
		.amdhsa_fp16_overflow 0
		.amdhsa_workgroup_processor_mode 1
		.amdhsa_memory_ordered 1
		.amdhsa_forward_progress 1
		.amdhsa_inst_pref_size 1
		.amdhsa_round_robin_scheduling 0
		.amdhsa_exception_fp_ieee_invalid_op 0
		.amdhsa_exception_fp_denorm_src 0
		.amdhsa_exception_fp_ieee_div_zero 0
		.amdhsa_exception_fp_ieee_overflow 0
		.amdhsa_exception_fp_ieee_underflow 0
		.amdhsa_exception_fp_ieee_inexact 0
		.amdhsa_exception_int_div_zero 0
	.end_amdhsa_kernel
	.section	.text._ZN2ck27kernel_gemm_xdl_cshuffle_v1INS_43GridwiseGemm_k0mk1_k0nk1_mn_xdl_cshuffle_v1INS_13tensor_layout4gemm8RowMajorENS3_11ColumnMajorES4_NS_9f8_fnuz_tEDF16_fDF16_DF16_NS_16tensor_operation12element_wise11PassThroughES9_S9_LNS7_6device18GemmSpecializationE0ELNS_25InMemoryDataOperationEnumE0ELi1ELi256ELi256ELi128ELi32ELi8ELi8ELi16ELi16ELi8ELi4ENS_8SequenceIJLi4ELi64ELi1EEEENSD_IJLi1ELi0ELi2EEEESF_Li2ELi8ELi8ELb0ELi1ESE_SF_SF_Li2ELi8ELi8ELb0ELi1ELi1ELi1ENSD_IJLi1ELi32ELi1ELi8EEEELi4ELNS_13LoopSchedulerE0ELNS_15PipelineVersionE0EDF16_DF16_EELb0EEEvNT_8ArgumentE,"axG",@progbits,_ZN2ck27kernel_gemm_xdl_cshuffle_v1INS_43GridwiseGemm_k0mk1_k0nk1_mn_xdl_cshuffle_v1INS_13tensor_layout4gemm8RowMajorENS3_11ColumnMajorES4_NS_9f8_fnuz_tEDF16_fDF16_DF16_NS_16tensor_operation12element_wise11PassThroughES9_S9_LNS7_6device18GemmSpecializationE0ELNS_25InMemoryDataOperationEnumE0ELi1ELi256ELi256ELi128ELi32ELi8ELi8ELi16ELi16ELi8ELi4ENS_8SequenceIJLi4ELi64ELi1EEEENSD_IJLi1ELi0ELi2EEEESF_Li2ELi8ELi8ELb0ELi1ESE_SF_SF_Li2ELi8ELi8ELb0ELi1ELi1ELi1ENSD_IJLi1ELi32ELi1ELi8EEEELi4ELNS_13LoopSchedulerE0ELNS_15PipelineVersionE0EDF16_DF16_EELb0EEEvNT_8ArgumentE,comdat
.Lfunc_end2:
	.size	_ZN2ck27kernel_gemm_xdl_cshuffle_v1INS_43GridwiseGemm_k0mk1_k0nk1_mn_xdl_cshuffle_v1INS_13tensor_layout4gemm8RowMajorENS3_11ColumnMajorES4_NS_9f8_fnuz_tEDF16_fDF16_DF16_NS_16tensor_operation12element_wise11PassThroughES9_S9_LNS7_6device18GemmSpecializationE0ELNS_25InMemoryDataOperationEnumE0ELi1ELi256ELi256ELi128ELi32ELi8ELi8ELi16ELi16ELi8ELi4ENS_8SequenceIJLi4ELi64ELi1EEEENSD_IJLi1ELi0ELi2EEEESF_Li2ELi8ELi8ELb0ELi1ESE_SF_SF_Li2ELi8ELi8ELb0ELi1ELi1ELi1ENSD_IJLi1ELi32ELi1ELi8EEEELi4ELNS_13LoopSchedulerE0ELNS_15PipelineVersionE0EDF16_DF16_EELb0EEEvNT_8ArgumentE, .Lfunc_end2-_ZN2ck27kernel_gemm_xdl_cshuffle_v1INS_43GridwiseGemm_k0mk1_k0nk1_mn_xdl_cshuffle_v1INS_13tensor_layout4gemm8RowMajorENS3_11ColumnMajorES4_NS_9f8_fnuz_tEDF16_fDF16_DF16_NS_16tensor_operation12element_wise11PassThroughES9_S9_LNS7_6device18GemmSpecializationE0ELNS_25InMemoryDataOperationEnumE0ELi1ELi256ELi256ELi128ELi32ELi8ELi8ELi16ELi16ELi8ELi4ENS_8SequenceIJLi4ELi64ELi1EEEENSD_IJLi1ELi0ELi2EEEESF_Li2ELi8ELi8ELb0ELi1ESE_SF_SF_Li2ELi8ELi8ELb0ELi1ELi1ELi1ENSD_IJLi1ELi32ELi1ELi8EEEELi4ELNS_13LoopSchedulerE0ELNS_15PipelineVersionE0EDF16_DF16_EELb0EEEvNT_8ArgumentE
                                        ; -- End function
	.set _ZN2ck27kernel_gemm_xdl_cshuffle_v1INS_43GridwiseGemm_k0mk1_k0nk1_mn_xdl_cshuffle_v1INS_13tensor_layout4gemm8RowMajorENS3_11ColumnMajorES4_NS_9f8_fnuz_tEDF16_fDF16_DF16_NS_16tensor_operation12element_wise11PassThroughES9_S9_LNS7_6device18GemmSpecializationE0ELNS_25InMemoryDataOperationEnumE0ELi1ELi256ELi256ELi128ELi32ELi8ELi8ELi16ELi16ELi8ELi4ENS_8SequenceIJLi4ELi64ELi1EEEENSD_IJLi1ELi0ELi2EEEESF_Li2ELi8ELi8ELb0ELi1ESE_SF_SF_Li2ELi8ELi8ELb0ELi1ELi1ELi1ENSD_IJLi1ELi32ELi1ELi8EEEELi4ELNS_13LoopSchedulerE0ELNS_15PipelineVersionE0EDF16_DF16_EELb0EEEvNT_8ArgumentE.num_vgpr, 0
	.set _ZN2ck27kernel_gemm_xdl_cshuffle_v1INS_43GridwiseGemm_k0mk1_k0nk1_mn_xdl_cshuffle_v1INS_13tensor_layout4gemm8RowMajorENS3_11ColumnMajorES4_NS_9f8_fnuz_tEDF16_fDF16_DF16_NS_16tensor_operation12element_wise11PassThroughES9_S9_LNS7_6device18GemmSpecializationE0ELNS_25InMemoryDataOperationEnumE0ELi1ELi256ELi256ELi128ELi32ELi8ELi8ELi16ELi16ELi8ELi4ENS_8SequenceIJLi4ELi64ELi1EEEENSD_IJLi1ELi0ELi2EEEESF_Li2ELi8ELi8ELb0ELi1ESE_SF_SF_Li2ELi8ELi8ELb0ELi1ELi1ELi1ENSD_IJLi1ELi32ELi1ELi8EEEELi4ELNS_13LoopSchedulerE0ELNS_15PipelineVersionE0EDF16_DF16_EELb0EEEvNT_8ArgumentE.num_agpr, 0
	.set _ZN2ck27kernel_gemm_xdl_cshuffle_v1INS_43GridwiseGemm_k0mk1_k0nk1_mn_xdl_cshuffle_v1INS_13tensor_layout4gemm8RowMajorENS3_11ColumnMajorES4_NS_9f8_fnuz_tEDF16_fDF16_DF16_NS_16tensor_operation12element_wise11PassThroughES9_S9_LNS7_6device18GemmSpecializationE0ELNS_25InMemoryDataOperationEnumE0ELi1ELi256ELi256ELi128ELi32ELi8ELi8ELi16ELi16ELi8ELi4ENS_8SequenceIJLi4ELi64ELi1EEEENSD_IJLi1ELi0ELi2EEEESF_Li2ELi8ELi8ELb0ELi1ESE_SF_SF_Li2ELi8ELi8ELb0ELi1ELi1ELi1ENSD_IJLi1ELi32ELi1ELi8EEEELi4ELNS_13LoopSchedulerE0ELNS_15PipelineVersionE0EDF16_DF16_EELb0EEEvNT_8ArgumentE.numbered_sgpr, 0
	.set _ZN2ck27kernel_gemm_xdl_cshuffle_v1INS_43GridwiseGemm_k0mk1_k0nk1_mn_xdl_cshuffle_v1INS_13tensor_layout4gemm8RowMajorENS3_11ColumnMajorES4_NS_9f8_fnuz_tEDF16_fDF16_DF16_NS_16tensor_operation12element_wise11PassThroughES9_S9_LNS7_6device18GemmSpecializationE0ELNS_25InMemoryDataOperationEnumE0ELi1ELi256ELi256ELi128ELi32ELi8ELi8ELi16ELi16ELi8ELi4ENS_8SequenceIJLi4ELi64ELi1EEEENSD_IJLi1ELi0ELi2EEEESF_Li2ELi8ELi8ELb0ELi1ESE_SF_SF_Li2ELi8ELi8ELb0ELi1ELi1ELi1ENSD_IJLi1ELi32ELi1ELi8EEEELi4ELNS_13LoopSchedulerE0ELNS_15PipelineVersionE0EDF16_DF16_EELb0EEEvNT_8ArgumentE.num_named_barrier, 0
	.set _ZN2ck27kernel_gemm_xdl_cshuffle_v1INS_43GridwiseGemm_k0mk1_k0nk1_mn_xdl_cshuffle_v1INS_13tensor_layout4gemm8RowMajorENS3_11ColumnMajorES4_NS_9f8_fnuz_tEDF16_fDF16_DF16_NS_16tensor_operation12element_wise11PassThroughES9_S9_LNS7_6device18GemmSpecializationE0ELNS_25InMemoryDataOperationEnumE0ELi1ELi256ELi256ELi128ELi32ELi8ELi8ELi16ELi16ELi8ELi4ENS_8SequenceIJLi4ELi64ELi1EEEENSD_IJLi1ELi0ELi2EEEESF_Li2ELi8ELi8ELb0ELi1ESE_SF_SF_Li2ELi8ELi8ELb0ELi1ELi1ELi1ENSD_IJLi1ELi32ELi1ELi8EEEELi4ELNS_13LoopSchedulerE0ELNS_15PipelineVersionE0EDF16_DF16_EELb0EEEvNT_8ArgumentE.private_seg_size, 0
	.set _ZN2ck27kernel_gemm_xdl_cshuffle_v1INS_43GridwiseGemm_k0mk1_k0nk1_mn_xdl_cshuffle_v1INS_13tensor_layout4gemm8RowMajorENS3_11ColumnMajorES4_NS_9f8_fnuz_tEDF16_fDF16_DF16_NS_16tensor_operation12element_wise11PassThroughES9_S9_LNS7_6device18GemmSpecializationE0ELNS_25InMemoryDataOperationEnumE0ELi1ELi256ELi256ELi128ELi32ELi8ELi8ELi16ELi16ELi8ELi4ENS_8SequenceIJLi4ELi64ELi1EEEENSD_IJLi1ELi0ELi2EEEESF_Li2ELi8ELi8ELb0ELi1ESE_SF_SF_Li2ELi8ELi8ELb0ELi1ELi1ELi1ENSD_IJLi1ELi32ELi1ELi8EEEELi4ELNS_13LoopSchedulerE0ELNS_15PipelineVersionE0EDF16_DF16_EELb0EEEvNT_8ArgumentE.uses_vcc, 0
	.set _ZN2ck27kernel_gemm_xdl_cshuffle_v1INS_43GridwiseGemm_k0mk1_k0nk1_mn_xdl_cshuffle_v1INS_13tensor_layout4gemm8RowMajorENS3_11ColumnMajorES4_NS_9f8_fnuz_tEDF16_fDF16_DF16_NS_16tensor_operation12element_wise11PassThroughES9_S9_LNS7_6device18GemmSpecializationE0ELNS_25InMemoryDataOperationEnumE0ELi1ELi256ELi256ELi128ELi32ELi8ELi8ELi16ELi16ELi8ELi4ENS_8SequenceIJLi4ELi64ELi1EEEENSD_IJLi1ELi0ELi2EEEESF_Li2ELi8ELi8ELb0ELi1ESE_SF_SF_Li2ELi8ELi8ELb0ELi1ELi1ELi1ENSD_IJLi1ELi32ELi1ELi8EEEELi4ELNS_13LoopSchedulerE0ELNS_15PipelineVersionE0EDF16_DF16_EELb0EEEvNT_8ArgumentE.uses_flat_scratch, 0
	.set _ZN2ck27kernel_gemm_xdl_cshuffle_v1INS_43GridwiseGemm_k0mk1_k0nk1_mn_xdl_cshuffle_v1INS_13tensor_layout4gemm8RowMajorENS3_11ColumnMajorES4_NS_9f8_fnuz_tEDF16_fDF16_DF16_NS_16tensor_operation12element_wise11PassThroughES9_S9_LNS7_6device18GemmSpecializationE0ELNS_25InMemoryDataOperationEnumE0ELi1ELi256ELi256ELi128ELi32ELi8ELi8ELi16ELi16ELi8ELi4ENS_8SequenceIJLi4ELi64ELi1EEEENSD_IJLi1ELi0ELi2EEEESF_Li2ELi8ELi8ELb0ELi1ESE_SF_SF_Li2ELi8ELi8ELb0ELi1ELi1ELi1ENSD_IJLi1ELi32ELi1ELi8EEEELi4ELNS_13LoopSchedulerE0ELNS_15PipelineVersionE0EDF16_DF16_EELb0EEEvNT_8ArgumentE.has_dyn_sized_stack, 0
	.set _ZN2ck27kernel_gemm_xdl_cshuffle_v1INS_43GridwiseGemm_k0mk1_k0nk1_mn_xdl_cshuffle_v1INS_13tensor_layout4gemm8RowMajorENS3_11ColumnMajorES4_NS_9f8_fnuz_tEDF16_fDF16_DF16_NS_16tensor_operation12element_wise11PassThroughES9_S9_LNS7_6device18GemmSpecializationE0ELNS_25InMemoryDataOperationEnumE0ELi1ELi256ELi256ELi128ELi32ELi8ELi8ELi16ELi16ELi8ELi4ENS_8SequenceIJLi4ELi64ELi1EEEENSD_IJLi1ELi0ELi2EEEESF_Li2ELi8ELi8ELb0ELi1ESE_SF_SF_Li2ELi8ELi8ELb0ELi1ELi1ELi1ENSD_IJLi1ELi32ELi1ELi8EEEELi4ELNS_13LoopSchedulerE0ELNS_15PipelineVersionE0EDF16_DF16_EELb0EEEvNT_8ArgumentE.has_recursion, 0
	.set _ZN2ck27kernel_gemm_xdl_cshuffle_v1INS_43GridwiseGemm_k0mk1_k0nk1_mn_xdl_cshuffle_v1INS_13tensor_layout4gemm8RowMajorENS3_11ColumnMajorES4_NS_9f8_fnuz_tEDF16_fDF16_DF16_NS_16tensor_operation12element_wise11PassThroughES9_S9_LNS7_6device18GemmSpecializationE0ELNS_25InMemoryDataOperationEnumE0ELi1ELi256ELi256ELi128ELi32ELi8ELi8ELi16ELi16ELi8ELi4ENS_8SequenceIJLi4ELi64ELi1EEEENSD_IJLi1ELi0ELi2EEEESF_Li2ELi8ELi8ELb0ELi1ESE_SF_SF_Li2ELi8ELi8ELb0ELi1ELi1ELi1ENSD_IJLi1ELi32ELi1ELi8EEEELi4ELNS_13LoopSchedulerE0ELNS_15PipelineVersionE0EDF16_DF16_EELb0EEEvNT_8ArgumentE.has_indirect_call, 0
	.section	.AMDGPU.csdata,"",@progbits
; Kernel info:
; codeLenInByte = 4
; TotalNumSgprs: 0
; NumVgprs: 0
; ScratchSize: 0
; MemoryBound: 0
; FloatMode: 240
; IeeeMode: 1
; LDSByteSize: 0 bytes/workgroup (compile time only)
; SGPRBlocks: 0
; VGPRBlocks: 0
; NumSGPRsForWavesPerEU: 1
; NumVGPRsForWavesPerEU: 1
; Occupancy: 16
; WaveLimiterHint : 0
; COMPUTE_PGM_RSRC2:SCRATCH_EN: 0
; COMPUTE_PGM_RSRC2:USER_SGPR: 2
; COMPUTE_PGM_RSRC2:TRAP_HANDLER: 0
; COMPUTE_PGM_RSRC2:TGID_X_EN: 1
; COMPUTE_PGM_RSRC2:TGID_Y_EN: 0
; COMPUTE_PGM_RSRC2:TGID_Z_EN: 0
; COMPUTE_PGM_RSRC2:TIDIG_COMP_CNT: 0
	.section	.text._ZN2ck27kernel_gemm_xdl_cshuffle_v1INS_43GridwiseGemm_k0mk1_k0nk1_mn_xdl_cshuffle_v1INS_13tensor_layout4gemm8RowMajorENS3_11ColumnMajorES4_NS_9f8_fnuz_tEDF16_fDF16_DF16_NS_16tensor_operation12element_wise11PassThroughES9_S9_LNS7_6device18GemmSpecializationE0ELNS_25InMemoryDataOperationEnumE0ELi1ELi256ELi256ELi128ELi32ELi8ELi8ELi16ELi16ELi8ELi2ENS_8SequenceIJLi4ELi64ELi1EEEENSD_IJLi1ELi0ELi2EEEESF_Li2ELi8ELi8ELb0ELi1ESE_SF_SF_Li2ELi8ELi8ELb0ELi1ELi1ELi1ENSD_IJLi1ELi32ELi1ELi8EEEELi4ELNS_13LoopSchedulerE0ELNS_15PipelineVersionE0EDF16_DF16_EELb1EEEvNT_8ArgumentE,"axG",@progbits,_ZN2ck27kernel_gemm_xdl_cshuffle_v1INS_43GridwiseGemm_k0mk1_k0nk1_mn_xdl_cshuffle_v1INS_13tensor_layout4gemm8RowMajorENS3_11ColumnMajorES4_NS_9f8_fnuz_tEDF16_fDF16_DF16_NS_16tensor_operation12element_wise11PassThroughES9_S9_LNS7_6device18GemmSpecializationE0ELNS_25InMemoryDataOperationEnumE0ELi1ELi256ELi256ELi128ELi32ELi8ELi8ELi16ELi16ELi8ELi2ENS_8SequenceIJLi4ELi64ELi1EEEENSD_IJLi1ELi0ELi2EEEESF_Li2ELi8ELi8ELb0ELi1ESE_SF_SF_Li2ELi8ELi8ELb0ELi1ELi1ELi1ENSD_IJLi1ELi32ELi1ELi8EEEELi4ELNS_13LoopSchedulerE0ELNS_15PipelineVersionE0EDF16_DF16_EELb1EEEvNT_8ArgumentE,comdat
	.protected	_ZN2ck27kernel_gemm_xdl_cshuffle_v1INS_43GridwiseGemm_k0mk1_k0nk1_mn_xdl_cshuffle_v1INS_13tensor_layout4gemm8RowMajorENS3_11ColumnMajorES4_NS_9f8_fnuz_tEDF16_fDF16_DF16_NS_16tensor_operation12element_wise11PassThroughES9_S9_LNS7_6device18GemmSpecializationE0ELNS_25InMemoryDataOperationEnumE0ELi1ELi256ELi256ELi128ELi32ELi8ELi8ELi16ELi16ELi8ELi2ENS_8SequenceIJLi4ELi64ELi1EEEENSD_IJLi1ELi0ELi2EEEESF_Li2ELi8ELi8ELb0ELi1ESE_SF_SF_Li2ELi8ELi8ELb0ELi1ELi1ELi1ENSD_IJLi1ELi32ELi1ELi8EEEELi4ELNS_13LoopSchedulerE0ELNS_15PipelineVersionE0EDF16_DF16_EELb1EEEvNT_8ArgumentE ; -- Begin function _ZN2ck27kernel_gemm_xdl_cshuffle_v1INS_43GridwiseGemm_k0mk1_k0nk1_mn_xdl_cshuffle_v1INS_13tensor_layout4gemm8RowMajorENS3_11ColumnMajorES4_NS_9f8_fnuz_tEDF16_fDF16_DF16_NS_16tensor_operation12element_wise11PassThroughES9_S9_LNS7_6device18GemmSpecializationE0ELNS_25InMemoryDataOperationEnumE0ELi1ELi256ELi256ELi128ELi32ELi8ELi8ELi16ELi16ELi8ELi2ENS_8SequenceIJLi4ELi64ELi1EEEENSD_IJLi1ELi0ELi2EEEESF_Li2ELi8ELi8ELb0ELi1ESE_SF_SF_Li2ELi8ELi8ELb0ELi1ELi1ELi1ENSD_IJLi1ELi32ELi1ELi8EEEELi4ELNS_13LoopSchedulerE0ELNS_15PipelineVersionE0EDF16_DF16_EELb1EEEvNT_8ArgumentE
	.globl	_ZN2ck27kernel_gemm_xdl_cshuffle_v1INS_43GridwiseGemm_k0mk1_k0nk1_mn_xdl_cshuffle_v1INS_13tensor_layout4gemm8RowMajorENS3_11ColumnMajorES4_NS_9f8_fnuz_tEDF16_fDF16_DF16_NS_16tensor_operation12element_wise11PassThroughES9_S9_LNS7_6device18GemmSpecializationE0ELNS_25InMemoryDataOperationEnumE0ELi1ELi256ELi256ELi128ELi32ELi8ELi8ELi16ELi16ELi8ELi2ENS_8SequenceIJLi4ELi64ELi1EEEENSD_IJLi1ELi0ELi2EEEESF_Li2ELi8ELi8ELb0ELi1ESE_SF_SF_Li2ELi8ELi8ELb0ELi1ELi1ELi1ENSD_IJLi1ELi32ELi1ELi8EEEELi4ELNS_13LoopSchedulerE0ELNS_15PipelineVersionE0EDF16_DF16_EELb1EEEvNT_8ArgumentE
	.p2align	8
	.type	_ZN2ck27kernel_gemm_xdl_cshuffle_v1INS_43GridwiseGemm_k0mk1_k0nk1_mn_xdl_cshuffle_v1INS_13tensor_layout4gemm8RowMajorENS3_11ColumnMajorES4_NS_9f8_fnuz_tEDF16_fDF16_DF16_NS_16tensor_operation12element_wise11PassThroughES9_S9_LNS7_6device18GemmSpecializationE0ELNS_25InMemoryDataOperationEnumE0ELi1ELi256ELi256ELi128ELi32ELi8ELi8ELi16ELi16ELi8ELi2ENS_8SequenceIJLi4ELi64ELi1EEEENSD_IJLi1ELi0ELi2EEEESF_Li2ELi8ELi8ELb0ELi1ESE_SF_SF_Li2ELi8ELi8ELb0ELi1ELi1ELi1ENSD_IJLi1ELi32ELi1ELi8EEEELi4ELNS_13LoopSchedulerE0ELNS_15PipelineVersionE0EDF16_DF16_EELb1EEEvNT_8ArgumentE,@function
_ZN2ck27kernel_gemm_xdl_cshuffle_v1INS_43GridwiseGemm_k0mk1_k0nk1_mn_xdl_cshuffle_v1INS_13tensor_layout4gemm8RowMajorENS3_11ColumnMajorES4_NS_9f8_fnuz_tEDF16_fDF16_DF16_NS_16tensor_operation12element_wise11PassThroughES9_S9_LNS7_6device18GemmSpecializationE0ELNS_25InMemoryDataOperationEnumE0ELi1ELi256ELi256ELi128ELi32ELi8ELi8ELi16ELi16ELi8ELi2ENS_8SequenceIJLi4ELi64ELi1EEEENSD_IJLi1ELi0ELi2EEEESF_Li2ELi8ELi8ELb0ELi1ESE_SF_SF_Li2ELi8ELi8ELb0ELi1ELi1ELi1ENSD_IJLi1ELi32ELi1ELi8EEEELi4ELNS_13LoopSchedulerE0ELNS_15PipelineVersionE0EDF16_DF16_EELb1EEEvNT_8ArgumentE: ; @_ZN2ck27kernel_gemm_xdl_cshuffle_v1INS_43GridwiseGemm_k0mk1_k0nk1_mn_xdl_cshuffle_v1INS_13tensor_layout4gemm8RowMajorENS3_11ColumnMajorES4_NS_9f8_fnuz_tEDF16_fDF16_DF16_NS_16tensor_operation12element_wise11PassThroughES9_S9_LNS7_6device18GemmSpecializationE0ELNS_25InMemoryDataOperationEnumE0ELi1ELi256ELi256ELi128ELi32ELi8ELi8ELi16ELi16ELi8ELi2ENS_8SequenceIJLi4ELi64ELi1EEEENSD_IJLi1ELi0ELi2EEEESF_Li2ELi8ELi8ELb0ELi1ESE_SF_SF_Li2ELi8ELi8ELb0ELi1ELi1ELi1ENSD_IJLi1ELi32ELi1ELi8EEEELi4ELNS_13LoopSchedulerE0ELNS_15PipelineVersionE0EDF16_DF16_EELb1EEEvNT_8ArgumentE
; %bb.0:
	s_clause 0x1
	s_load_b128 s[4:7], s[0:1], 0x10
	s_load_b64 s[24:25], s[0:1], 0x20
	s_abs_i32 s11, ttmp9
	s_load_b32 s28, s[0:1], 0x34
	v_and_b32_e32 v7, 0xfc, v0
	v_and_b32_e32 v131, 3, v0
	s_delay_alu instid0(VALU_DEP_1)
	v_lshlrev_b32_e32 v134, 3, v131
	s_wait_kmcnt 0x0
	s_add_co_i32 s2, s4, 0xff
	s_add_co_i32 s3, s5, 0x7f
	s_ashr_i32 s8, s2, 31
	s_ashr_i32 s9, s3, 31
	s_lshr_b32 s8, s8, 24
	s_lshr_b32 s9, s9, 25
	s_add_co_i32 s2, s2, s8
	s_add_co_i32 s3, s3, s9
	s_ashr_i32 s2, s2, 8
	s_ashr_i32 s3, s3, 7
	s_mov_b32 s15, s6
	s_mul_i32 s8, s3, s2
	s_delay_alu instid0(SALU_CYCLE_1) | instskip(NEXT) | instid1(SALU_CYCLE_1)
	s_abs_i32 s8, s8
	s_cvt_f32_u32 s9, s8
	s_sub_co_i32 s10, 0, s8
	s_delay_alu instid0(SALU_CYCLE_2) | instskip(NEXT) | instid1(TRANS32_DEP_1)
	v_rcp_iflag_f32_e32 v1, s9
	v_readfirstlane_b32 s9, v1
	s_mul_f32 s9, s9, 0x4f7ffffe
	s_wait_alu 0xfffe
	s_delay_alu instid0(SALU_CYCLE_2) | instskip(SKIP_1) | instid1(SALU_CYCLE_2)
	s_cvt_u32_f32 s9, s9
	s_wait_alu 0xfffe
	s_mul_i32 s10, s10, s9
	s_delay_alu instid0(SALU_CYCLE_1) | instskip(NEXT) | instid1(SALU_CYCLE_1)
	s_mul_hi_u32 s10, s9, s10
	s_add_co_i32 s9, s9, s10
	s_ashr_i32 s10, ttmp9, 31
	s_wait_alu 0xfffe
	s_mul_hi_u32 s9, s11, s9
	s_wait_alu 0xfffe
	s_mul_i32 s9, s9, s8
	s_wait_alu 0xfffe
	s_sub_co_i32 s9, s11, s9
	s_wait_alu 0xfffe
	s_sub_co_i32 s11, s9, s8
	s_cmp_ge_u32 s9, s8
	s_cselect_b32 s9, s11, s9
	s_wait_alu 0xfffe
	s_sub_co_i32 s11, s9, s8
	s_cmp_ge_u32 s9, s8
	s_cselect_b32 s8, s11, s9
	s_abs_i32 s9, s3
	s_wait_alu 0xfffe
	s_xor_b32 s8, s8, s10
	s_cvt_f32_u32 s11, s9
	s_sub_co_i32 s12, 0, s9
	s_wait_alu 0xfffe
	s_sub_co_i32 s8, s8, s10
	v_rcp_iflag_f32_e32 v1, s11
	s_delay_alu instid0(TRANS32_DEP_1) | instskip(SKIP_2) | instid1(SALU_CYCLE_2)
	v_readfirstlane_b32 s11, v1
	s_mul_f32 s11, s11, 0x4f7ffffe
	s_wait_alu 0xfffe
	s_cvt_u32_f32 s11, s11
	s_wait_alu 0xfffe
	s_delay_alu instid0(SALU_CYCLE_2) | instskip(NEXT) | instid1(SALU_CYCLE_1)
	s_mul_i32 s12, s12, s11
	s_mul_hi_u32 s10, s11, s12
	s_abs_i32 s12, s8
	s_wait_alu 0xfffe
	s_add_co_i32 s11, s11, s10
	s_wait_alu 0xfffe
	s_mul_hi_u32 s10, s12, s11
	s_xor_b32 s11, s8, s3
	s_wait_alu 0xfffe
	s_mul_i32 s13, s10, s9
	s_ashr_i32 s11, s11, 31
	s_sub_co_i32 s12, s12, s13
	s_add_co_i32 s13, s10, 1
	s_sub_co_i32 s14, s12, s9
	s_cmp_ge_u32 s12, s9
	s_cselect_b32 s10, s13, s10
	s_cselect_b32 s12, s14, s12
	s_wait_alu 0xfffe
	s_add_co_i32 s13, s10, 1
	s_cmp_ge_u32 s12, s9
	s_cselect_b32 s9, s13, s10
	s_lshr_b32 s10, s2, 29
	s_wait_alu 0xfffe
	s_xor_b32 s9, s9, s11
	s_add_co_i32 s10, s2, s10
	s_wait_alu 0xfffe
	s_sub_co_i32 s9, s9, s11
	s_and_b32 s10, s10, -8
	s_wait_alu 0xfffe
	s_mul_i32 s13, s9, s3
	s_sub_co_i32 s2, s2, s10
	s_cmp_ge_i32 s9, s10
	s_cselect_b32 s2, s2, 8
	s_ashr_i32 s12, s9, 31
	s_abs_i32 s10, s2
	s_lshr_b32 s12, s12, 29
	s_wait_alu 0xfffe
	s_cvt_f32_u32 s11, s10
	s_add_co_i32 s12, s9, s12
	s_sub_co_i32 s8, s8, s13
	s_and_b32 s27, s12, -8
	s_wait_alu 0xfffe
	v_rcp_iflag_f32_e32 v1, s11
	s_sub_co_i32 s9, s9, s27
	s_sub_co_i32 s12, 0, s10
	s_wait_alu 0xfffe
	s_mul_i32 s3, s9, s3
	s_delay_alu instid0(SALU_CYCLE_1) | instskip(NEXT) | instid1(SALU_CYCLE_1)
	s_add_co_i32 s3, s3, s8
	s_abs_i32 s9, s3
	s_delay_alu instid0(TRANS32_DEP_1) | instskip(SKIP_2) | instid1(SALU_CYCLE_2)
	v_readfirstlane_b32 s11, v1
	s_mul_f32 s11, s11, 0x4f7ffffe
	s_wait_alu 0xfffe
	s_cvt_u32_f32 s11, s11
	s_wait_alu 0xfffe
	s_delay_alu instid0(SALU_CYCLE_2) | instskip(NEXT) | instid1(SALU_CYCLE_1)
	s_mul_i32 s12, s12, s11
	s_mul_hi_u32 s8, s11, s12
	s_wait_alu 0xfffe
	s_add_co_i32 s11, s11, s8
	s_wait_alu 0xfffe
	s_mul_hi_u32 s8, s9, s11
	s_xor_b32 s11, s3, s2
	s_wait_alu 0xfffe
	s_mul_i32 s12, s8, s10
	s_ashr_i32 s11, s11, 31
	s_sub_co_i32 s9, s9, s12
	s_add_co_i32 s12, s8, 1
	s_wait_alu 0xfffe
	s_sub_co_i32 s13, s9, s10
	s_cmp_ge_u32 s9, s10
	s_cselect_b32 s8, s12, s8
	s_cselect_b32 s9, s13, s9
	s_wait_alu 0xfffe
	s_add_co_i32 s12, s8, 1
	s_cmp_ge_u32 s9, s10
	s_cselect_b32 s8, s12, s8
	s_mov_b32 s12, s7
	s_wait_alu 0xfffe
	s_xor_b32 s8, s8, s11
	s_wait_alu 0xfffe
	s_sub_co_i32 s26, s8, s11
	s_load_b128 s[8:11], s[0:1], 0x48
	s_mul_i32 s2, s26, s2
	s_delay_alu instid0(SALU_CYCLE_1)
	s_sub_co_i32 s3, s3, s2
	s_mov_b32 s2, 0
	s_add_co_i32 s27, s27, s3
	s_mov_b32 s13, s2
	v_lshl_or_b32 v5, s27, 8, v7
	s_add_co_i32 s3, s4, -1
	s_mov_b32 s14, s2
	s_mul_u64 s[12:13], s[2:3], s[12:13]
	s_mov_b32 s4, s2
	v_mul_lo_u32 v6, v5, s7
	s_add_nc_u64 s[12:13], s[12:13], s[14:15]
	s_mov_b32 s15, 0x31004000
	s_mov_b32 s14, s13
	s_wait_kmcnt 0x0
	s_and_b32 s9, s9, 0xffff
	s_delay_alu instid0(VALU_DEP_1)
	v_add_nc_u32_e32 v16, v6, v134
	s_mov_b32 s12, s8
	s_wait_alu 0xfffe
	s_mov_b32 s13, s9
	buffer_load_b64 v[1:2], v16, s[12:15], null offen
	s_mov_b32 s13, -1
	s_mov_b32 s12, exec_lo
	s_wait_loadcnt 0x0
	v_and_b32_e32 v3, 0xff, v1
	s_delay_alu instid0(VALU_DEP_1)
	v_cmpx_lt_i16_e32 0x7f, v3
	s_xor_b32 s12, exec_lo, s12
	s_cbranch_execz .LBB3_4
; %bb.1:
	s_mov_b32 s4, exec_lo
	v_cmpx_eq_u16_e32 0x80, v3
; %bb.2:
	s_xor_b32 s13, exec_lo, -1
; %bb.3:
	s_or_b32 exec_lo, exec_lo, s4
	s_delay_alu instid0(SALU_CYCLE_1)
	s_and_b32 s4, s13, exec_lo
                                        ; implicit-def: $vgpr3
.LBB3_4:
	s_or_saveexec_b32 s12, s12
	s_load_b64 s[0:1], s[0:1], 0x58
	v_mov_b32_e32 v8, 0x7c01
	s_xor_b32 exec_lo, exec_lo, s12
; %bb.5:
	v_cmp_ne_u16_e32 vcc_lo, 0, v3
	v_mov_b32_e32 v8, 0
	s_and_not1_b32 s4, s4, exec_lo
	s_and_b32 s13, vcc_lo, exec_lo
	s_delay_alu instid0(SALU_CYCLE_1)
	s_or_b32 s4, s4, s13
; %bb.6:
	s_or_b32 exec_lo, exec_lo, s12
	s_and_saveexec_b32 s12, s4
	s_cbranch_execz .LBB3_8
; %bb.7:
	v_lshrrev_b16 v8, 3, v1
	s_delay_alu instid0(VALU_DEP_1) | instskip(NEXT) | instid1(VALU_DEP_1)
	v_and_b32_e32 v8, 15, v8
	v_and_b32_e32 v10, 0xffff, v8
	v_cmp_eq_u16_e32 vcc_lo, 0, v8
	v_and_b32_e32 v3, 7, v1
	v_lshlrev_b32_e32 v8, 8, v1
	s_delay_alu instid0(VALU_DEP_2) | instskip(NEXT) | instid1(VALU_DEP_2)
	v_clz_i32_u32_e32 v4, v3
	v_and_b32_e32 v8, 0x8000, v8
	s_delay_alu instid0(VALU_DEP_2) | instskip(NEXT) | instid1(VALU_DEP_1)
	v_min_u32_e32 v4, 32, v4
	v_subrev_nc_u32_e32 v9, 28, v4
	v_sub_nc_u32_e32 v4, 29, v4
	s_delay_alu instid0(VALU_DEP_1) | instskip(NEXT) | instid1(VALU_DEP_1)
	v_dual_cndmask_b32 v4, v10, v4 :: v_dual_lshlrev_b32 v9, v9, v1
	v_and_b32_e32 v9, 7, v9
	s_delay_alu instid0(VALU_DEP_2) | instskip(NEXT) | instid1(VALU_DEP_2)
	v_lshl_add_u32 v4, v4, 10, 0x1c00
	v_cndmask_b32_e32 v3, v3, v9, vcc_lo
	s_delay_alu instid0(VALU_DEP_1) | instskip(NEXT) | instid1(VALU_DEP_1)
	v_lshlrev_b32_e32 v3, 7, v3
	v_or3_b32 v8, v8, v4, v3
.LBB3_8:
	s_or_b32 exec_lo, exec_lo, s12
	v_lshrrev_b32_e32 v10, 8, v1
	s_mov_b32 s4, 0
	s_mov_b32 s12, exec_lo
	s_delay_alu instid0(VALU_DEP_1) | instskip(NEXT) | instid1(VALU_DEP_1)
	v_and_b32_e32 v3, 0xff, v10
	v_cmpx_lt_i16_e32 0x7f, v3
	s_xor_b32 s12, exec_lo, s12
	s_cbranch_execz .LBB3_12
; %bb.9:
	s_mov_b32 s4, -1
	s_mov_b32 s13, exec_lo
	v_cmpx_eq_u16_e32 0x80, v3
; %bb.10:
	s_xor_b32 s4, exec_lo, -1
; %bb.11:
	s_or_b32 exec_lo, exec_lo, s13
	s_delay_alu instid0(SALU_CYCLE_1)
	s_and_b32 s4, s4, exec_lo
                                        ; implicit-def: $vgpr3
.LBB3_12:
	s_or_saveexec_b32 s12, s12
	v_mov_b32_e32 v9, 0x7c01
	s_xor_b32 exec_lo, exec_lo, s12
; %bb.13:
	v_cmp_ne_u16_e32 vcc_lo, 0, v3
	v_mov_b32_e32 v9, 0
	s_and_not1_b32 s4, s4, exec_lo
	s_and_b32 s13, vcc_lo, exec_lo
	s_delay_alu instid0(SALU_CYCLE_1)
	s_or_b32 s4, s4, s13
; %bb.14:
	s_or_b32 exec_lo, exec_lo, s12
	v_lshrrev_b64 v[3:4], 24, v[1:2]
	v_lshrrev_b32_e32 v4, 24, v2
	v_lshrrev_b32_e32 v15, 16, v2
	;; [unrolled: 1-line block ×4, first 2 shown]
	s_and_saveexec_b32 s12, s4
	s_cbranch_execz .LBB3_16
; %bb.15:
	v_and_b32_e32 v9, 7, v10
	v_lshrrev_b16 v12, 3, v10
	v_lshrrev_b16 v10, 7, v10
	s_delay_alu instid0(VALU_DEP_3) | instskip(NEXT) | instid1(VALU_DEP_1)
	v_clz_i32_u32_e32 v11, v9
	v_min_u32_e32 v11, 32, v11
	s_delay_alu instid0(VALU_DEP_1) | instskip(SKIP_1) | instid1(VALU_DEP_2)
	v_subrev_nc_u32_e32 v13, 28, v11
	v_sub_nc_u32_e32 v11, 29, v11
	v_lshlrev_b32_e32 v13, v13, v9
	s_delay_alu instid0(VALU_DEP_1) | instskip(SKIP_1) | instid1(VALU_DEP_1)
	v_and_b32_e32 v13, 7, v13
	v_and_b32_e32 v12, 15, v12
	v_cmp_eq_u16_e32 vcc_lo, 0, v12
	s_wait_alu 0xfffd
	s_delay_alu instid0(VALU_DEP_3) | instskip(SKIP_2) | instid1(VALU_DEP_3)
	v_cndmask_b32_e32 v9, v9, v13, vcc_lo
	v_and_b32_e32 v17, 0xffff, v12
	v_and_b32_e32 v10, 1, v10
	v_lshlrev_b32_e32 v9, 7, v9
	s_delay_alu instid0(VALU_DEP_2) | instskip(NEXT) | instid1(VALU_DEP_1)
	v_dual_cndmask_b32 v11, v17, v11 :: v_dual_lshlrev_b32 v10, 15, v10
	v_lshl_add_u32 v11, v11, 10, 0x1c00
	s_delay_alu instid0(VALU_DEP_1)
	v_or3_b32 v9, v10, v11, v9
.LBB3_16:
	s_or_b32 exec_lo, exec_lo, s12
	s_delay_alu instid0(VALU_DEP_1) | instskip(SKIP_2) | instid1(VALU_DEP_1)
	v_and_b32_e32 v11, 0xff, v1
	s_mov_b32 s4, 0
	s_mov_b32 s12, exec_lo
	v_cmpx_lt_i16_e32 0x7f, v11
	s_xor_b32 s12, exec_lo, s12
	s_cbranch_execnz .LBB3_407
; %bb.17:
	s_or_saveexec_b32 s12, s12
	v_mov_b32_e32 v10, 0x7c01
	s_xor_b32 exec_lo, exec_lo, s12
	s_cbranch_execnz .LBB3_410
.LBB3_18:
	s_or_b32 exec_lo, exec_lo, s12
	s_and_saveexec_b32 s12, s4
	s_cbranch_execz .LBB3_20
.LBB3_19:
	v_lshrrev_b16 v12, 3, v1
	s_delay_alu instid0(VALU_DEP_1) | instskip(NEXT) | instid1(VALU_DEP_1)
	v_and_b32_e32 v12, 15, v12
	v_cmp_eq_u16_e32 vcc_lo, 0, v12
	v_and_b32_e32 v17, 0xffff, v12
	v_and_b32_e32 v10, 7, v1
	v_lshrrev_b16 v1, 7, v1
	s_delay_alu instid0(VALU_DEP_2) | instskip(NEXT) | instid1(VALU_DEP_2)
	v_clz_i32_u32_e32 v11, v10
	v_and_b32_e32 v1, 1, v1
	s_delay_alu instid0(VALU_DEP_2) | instskip(NEXT) | instid1(VALU_DEP_2)
	v_min_u32_e32 v11, 32, v11
	v_lshlrev_b32_e32 v1, 15, v1
	s_delay_alu instid0(VALU_DEP_2) | instskip(SKIP_2) | instid1(VALU_DEP_1)
	v_subrev_nc_u32_e32 v13, 28, v11
	v_sub_nc_u32_e32 v11, 29, v11
	s_wait_alu 0xfffd
	v_cndmask_b32_e32 v11, v17, v11, vcc_lo
	s_delay_alu instid0(VALU_DEP_3) | instskip(NEXT) | instid1(VALU_DEP_2)
	v_lshlrev_b32_e32 v13, v13, v10
	v_lshl_add_u32 v11, v11, 10, 0x1c00
	s_delay_alu instid0(VALU_DEP_2) | instskip(NEXT) | instid1(VALU_DEP_1)
	v_and_b32_e32 v13, 7, v13
	v_cndmask_b32_e32 v10, v10, v13, vcc_lo
	s_delay_alu instid0(VALU_DEP_1) | instskip(NEXT) | instid1(VALU_DEP_1)
	v_lshlrev_b32_e32 v10, 7, v10
	v_or3_b32 v10, v1, v11, v10
.LBB3_20:
	s_or_b32 exec_lo, exec_lo, s12
	v_and_b32_e32 v1, 0xff, v3
	s_mov_b32 s4, 0
	s_mov_b32 s12, exec_lo
	s_delay_alu instid0(VALU_DEP_1)
	v_cmpx_lt_i16_e32 0x7f, v1
	s_xor_b32 s12, exec_lo, s12
	s_cbranch_execnz .LBB3_411
; %bb.21:
	s_or_saveexec_b32 s12, s12
	v_mov_b32_e32 v11, 0x7c01
	s_xor_b32 exec_lo, exec_lo, s12
	s_cbranch_execnz .LBB3_414
.LBB3_22:
	s_or_b32 exec_lo, exec_lo, s12
	s_and_saveexec_b32 s12, s4
	s_cbranch_execz .LBB3_24
.LBB3_23:
	v_and_b32_e32 v1, 7, v3
	v_lshrrev_b16 v12, 3, v3
	v_lshrrev_b16 v3, 7, v3
	s_delay_alu instid0(VALU_DEP_3) | instskip(NEXT) | instid1(VALU_DEP_2)
	v_clz_i32_u32_e32 v11, v1
	v_and_b32_e32 v3, 1, v3
	s_delay_alu instid0(VALU_DEP_2) | instskip(NEXT) | instid1(VALU_DEP_2)
	v_min_u32_e32 v11, 32, v11
	v_lshlrev_b32_e32 v3, 15, v3
	s_delay_alu instid0(VALU_DEP_2) | instskip(SKIP_1) | instid1(VALU_DEP_2)
	v_subrev_nc_u32_e32 v13, 28, v11
	v_sub_nc_u32_e32 v11, 29, v11
	v_lshlrev_b32_e32 v13, v13, v1
	s_delay_alu instid0(VALU_DEP_1) | instskip(SKIP_1) | instid1(VALU_DEP_1)
	v_and_b32_e32 v13, 7, v13
	v_and_b32_e32 v12, 15, v12
	v_cmp_eq_u16_e32 vcc_lo, 0, v12
	s_wait_alu 0xfffd
	s_delay_alu instid0(VALU_DEP_3) | instskip(SKIP_1) | instid1(VALU_DEP_2)
	v_cndmask_b32_e32 v1, v1, v13, vcc_lo
	v_and_b32_e32 v17, 0xffff, v12
	v_lshlrev_b32_e32 v1, 7, v1
	s_delay_alu instid0(VALU_DEP_2) | instskip(NEXT) | instid1(VALU_DEP_1)
	v_cndmask_b32_e32 v11, v17, v11, vcc_lo
	v_lshl_add_u32 v11, v11, 10, 0x1c00
	s_delay_alu instid0(VALU_DEP_1)
	v_or3_b32 v11, v3, v11, v1
.LBB3_24:
	s_or_b32 exec_lo, exec_lo, s12
	v_and_b32_e32 v1, 0xff, v2
	s_mov_b32 s4, 0
	s_mov_b32 s12, exec_lo
	s_delay_alu instid0(VALU_DEP_1)
	v_cmpx_lt_i16_e32 0x7f, v1
	s_xor_b32 s12, exec_lo, s12
	s_cbranch_execnz .LBB3_415
; %bb.25:
	s_or_saveexec_b32 s12, s12
	v_mov_b32_e32 v12, 0x7c01
	s_xor_b32 exec_lo, exec_lo, s12
	s_cbranch_execnz .LBB3_418
.LBB3_26:
	s_or_b32 exec_lo, exec_lo, s12
	s_and_saveexec_b32 s12, s4
	s_cbranch_execz .LBB3_28
.LBB3_27:
	v_and_b32_e32 v1, 7, v2
	v_lshrrev_b16 v12, 3, v2
	s_delay_alu instid0(VALU_DEP_2) | instskip(NEXT) | instid1(VALU_DEP_1)
	v_clz_i32_u32_e32 v3, v1
	v_min_u32_e32 v3, 32, v3
	s_delay_alu instid0(VALU_DEP_1) | instskip(SKIP_1) | instid1(VALU_DEP_2)
	v_subrev_nc_u32_e32 v13, 28, v3
	v_sub_nc_u32_e32 v3, 29, v3
	v_lshlrev_b32_e32 v13, v13, v2
	s_delay_alu instid0(VALU_DEP_1) | instskip(SKIP_1) | instid1(VALU_DEP_1)
	v_and_b32_e32 v13, 7, v13
	v_and_b32_e32 v12, 15, v12
	v_cmp_eq_u16_e32 vcc_lo, 0, v12
	s_wait_alu 0xfffd
	s_delay_alu instid0(VALU_DEP_3) | instskip(SKIP_2) | instid1(VALU_DEP_3)
	v_cndmask_b32_e32 v1, v1, v13, vcc_lo
	v_and_b32_e32 v17, 0xffff, v12
	v_lshlrev_b32_e32 v2, 8, v2
	v_lshlrev_b32_e32 v1, 7, v1
	s_delay_alu instid0(VALU_DEP_2) | instskip(NEXT) | instid1(VALU_DEP_1)
	v_dual_cndmask_b32 v3, v17, v3 :: v_dual_and_b32 v2, 0x8000, v2
	v_lshl_add_u32 v3, v3, 10, 0x1c00
	s_delay_alu instid0(VALU_DEP_1)
	v_or3_b32 v12, v2, v3, v1
.LBB3_28:
	s_or_b32 exec_lo, exec_lo, s12
	v_and_b32_e32 v1, 0xff, v14
	s_mov_b32 s4, 0
	s_mov_b32 s12, exec_lo
	s_delay_alu instid0(VALU_DEP_1)
	v_cmpx_lt_i16_e32 0x7f, v1
	s_xor_b32 s12, exec_lo, s12
	s_cbranch_execnz .LBB3_419
; %bb.29:
	s_or_saveexec_b32 s12, s12
	v_mov_b32_e32 v13, 0x7c01
	s_xor_b32 exec_lo, exec_lo, s12
	s_cbranch_execnz .LBB3_422
.LBB3_30:
	s_or_b32 exec_lo, exec_lo, s12
	s_and_saveexec_b32 s12, s4
	s_cbranch_execz .LBB3_32
.LBB3_31:
	v_and_b32_e32 v1, 7, v14
	v_lshrrev_b16 v3, 3, v14
	v_lshrrev_b16 v14, 7, v14
	s_delay_alu instid0(VALU_DEP_3) | instskip(NEXT) | instid1(VALU_DEP_1)
	v_clz_i32_u32_e32 v2, v1
	v_min_u32_e32 v2, 32, v2
	s_delay_alu instid0(VALU_DEP_1) | instskip(SKIP_2) | instid1(VALU_DEP_3)
	v_subrev_nc_u32_e32 v13, 28, v2
	v_sub_nc_u32_e32 v2, 29, v2
	v_and_b32_e32 v3, 15, v3
	v_lshlrev_b32_e32 v13, v13, v1
	s_delay_alu instid0(VALU_DEP_2) | instskip(SKIP_3) | instid1(VALU_DEP_3)
	v_and_b32_e32 v17, 0xffff, v3
	v_cmp_eq_u16_e32 vcc_lo, 0, v3
	v_and_b32_e32 v3, 1, v14
	s_wait_alu 0xfffd
	v_dual_cndmask_b32 v2, v17, v2 :: v_dual_and_b32 v13, 7, v13
	s_delay_alu instid0(VALU_DEP_2) | instskip(NEXT) | instid1(VALU_DEP_2)
	v_lshlrev_b32_e32 v3, 15, v3
	v_cndmask_b32_e32 v1, v1, v13, vcc_lo
	s_delay_alu instid0(VALU_DEP_3) | instskip(NEXT) | instid1(VALU_DEP_2)
	v_lshl_add_u32 v2, v2, 10, 0x1c00
	v_lshlrev_b32_e32 v1, 7, v1
	s_delay_alu instid0(VALU_DEP_1)
	v_or3_b32 v13, v3, v2, v1
.LBB3_32:
	s_or_b32 exec_lo, exec_lo, s12
	v_and_b32_e32 v1, 0xff, v15
	s_mov_b32 s4, 0
	s_mov_b32 s12, exec_lo
	s_delay_alu instid0(VALU_DEP_1)
	v_cmpx_lt_i16_e32 0x7f, v1
	s_xor_b32 s12, exec_lo, s12
	s_cbranch_execnz .LBB3_423
; %bb.33:
	s_or_saveexec_b32 s12, s12
	v_mov_b32_e32 v14, 0x7c01
	s_xor_b32 exec_lo, exec_lo, s12
	s_cbranch_execnz .LBB3_426
.LBB3_34:
	s_or_b32 exec_lo, exec_lo, s12
	s_and_saveexec_b32 s12, s4
	s_cbranch_execz .LBB3_36
.LBB3_35:
	v_lshrrev_b16 v3, 3, v15
	s_delay_alu instid0(VALU_DEP_1) | instskip(NEXT) | instid1(VALU_DEP_1)
	v_and_b32_e32 v3, 15, v3
	v_and_b32_e32 v17, 0xffff, v3
	v_cmp_eq_u16_e32 vcc_lo, 0, v3
	v_and_b32_e32 v1, 7, v15
	v_lshrrev_b16 v15, 7, v15
	s_delay_alu instid0(VALU_DEP_2) | instskip(NEXT) | instid1(VALU_DEP_2)
	v_clz_i32_u32_e32 v2, v1
	v_and_b32_e32 v3, 1, v15
	s_delay_alu instid0(VALU_DEP_2) | instskip(NEXT) | instid1(VALU_DEP_2)
	v_min_u32_e32 v2, 32, v2
	v_lshlrev_b32_e32 v3, 15, v3
	s_delay_alu instid0(VALU_DEP_2) | instskip(SKIP_2) | instid1(VALU_DEP_1)
	v_subrev_nc_u32_e32 v14, 28, v2
	v_sub_nc_u32_e32 v2, 29, v2
	s_wait_alu 0xfffd
	v_cndmask_b32_e32 v2, v17, v2, vcc_lo
	s_delay_alu instid0(VALU_DEP_3) | instskip(NEXT) | instid1(VALU_DEP_2)
	v_lshlrev_b32_e32 v14, v14, v1
	v_lshl_add_u32 v2, v2, 10, 0x1c00
	s_delay_alu instid0(VALU_DEP_2) | instskip(NEXT) | instid1(VALU_DEP_1)
	v_and_b32_e32 v14, 7, v14
	v_cndmask_b32_e32 v1, v1, v14, vcc_lo
	s_delay_alu instid0(VALU_DEP_1) | instskip(NEXT) | instid1(VALU_DEP_1)
	v_lshlrev_b32_e32 v1, 7, v1
	v_or3_b32 v14, v3, v2, v1
.LBB3_36:
	s_or_b32 exec_lo, exec_lo, s12
	s_mov_b32 s12, 0
	s_mov_b32 s4, exec_lo
	v_cmpx_lt_i16_e32 0x7f, v4
	s_xor_b32 s4, exec_lo, s4
	s_cbranch_execnz .LBB3_427
; %bb.37:
	s_or_saveexec_b32 s4, s4
	v_mov_b32_e32 v15, 0x7c01
	s_xor_b32 exec_lo, exec_lo, s4
	s_cbranch_execnz .LBB3_430
.LBB3_38:
	s_or_b32 exec_lo, exec_lo, s4
	s_and_saveexec_b32 s4, s12
	s_cbranch_execz .LBB3_40
.LBB3_39:
	v_lshrrev_b16 v3, 3, v4
	s_delay_alu instid0(VALU_DEP_1) | instskip(NEXT) | instid1(VALU_DEP_1)
	v_and_b32_e32 v3, 15, v3
	v_and_b32_e32 v17, 0xffff, v3
	v_cmp_eq_u16_e32 vcc_lo, 0, v3
	v_and_b32_e32 v1, 7, v4
	v_lshrrev_b16 v3, 7, v4
	s_delay_alu instid0(VALU_DEP_2) | instskip(NEXT) | instid1(VALU_DEP_2)
	v_clz_i32_u32_e32 v2, v1
	v_lshlrev_b32_e32 v3, 15, v3
	s_delay_alu instid0(VALU_DEP_2) | instskip(NEXT) | instid1(VALU_DEP_1)
	v_min_u32_e32 v2, 32, v2
	v_subrev_nc_u32_e32 v15, 28, v2
	v_sub_nc_u32_e32 v2, 29, v2
	s_wait_alu 0xfffd
	s_delay_alu instid0(VALU_DEP_1) | instskip(NEXT) | instid1(VALU_DEP_1)
	v_dual_cndmask_b32 v2, v17, v2 :: v_dual_lshlrev_b32 v15, v15, v1
	v_lshl_add_u32 v2, v2, 10, 0x1c00
	s_delay_alu instid0(VALU_DEP_2) | instskip(NEXT) | instid1(VALU_DEP_1)
	v_and_b32_e32 v15, 7, v15
	v_cndmask_b32_e32 v1, v1, v15, vcc_lo
	s_delay_alu instid0(VALU_DEP_1) | instskip(NEXT) | instid1(VALU_DEP_1)
	v_lshlrev_b32_e32 v1, 7, v1
	v_or3_b32 v15, v3, v2, v1
.LBB3_40:
	s_or_b32 exec_lo, exec_lo, s4
	v_add_nc_u32_e32 v24, s7, v16
	s_mov_b32 s12, s8
	s_mov_b32 s13, s9
	s_mov_b32 s4, 0
	buffer_load_b64 v[1:2], v24, s[12:15], null offen
	s_mov_b32 s12, exec_lo
	s_wait_loadcnt 0x0
	v_and_b32_e32 v3, 0xff, v1
	s_delay_alu instid0(VALU_DEP_1)
	v_cmpx_lt_i16_e32 0x7f, v3
	s_xor_b32 s12, exec_lo, s12
	s_cbranch_execnz .LBB3_431
; %bb.41:
	s_or_saveexec_b32 s12, s12
	v_mov_b32_e32 v16, 0x7c01
	s_xor_b32 exec_lo, exec_lo, s12
	s_cbranch_execnz .LBB3_434
.LBB3_42:
	s_or_b32 exec_lo, exec_lo, s12
	s_and_saveexec_b32 s12, s4
	s_cbranch_execz .LBB3_44
.LBB3_43:
	v_lshrrev_b16 v16, 3, v1
	s_delay_alu instid0(VALU_DEP_1) | instskip(NEXT) | instid1(VALU_DEP_1)
	v_and_b32_e32 v16, 15, v16
	v_and_b32_e32 v18, 0xffff, v16
	v_cmp_eq_u16_e32 vcc_lo, 0, v16
	v_and_b32_e32 v3, 7, v1
	v_lshlrev_b32_e32 v16, 8, v1
	s_delay_alu instid0(VALU_DEP_2) | instskip(NEXT) | instid1(VALU_DEP_2)
	v_clz_i32_u32_e32 v4, v3
	v_and_b32_e32 v16, 0x8000, v16
	s_delay_alu instid0(VALU_DEP_2) | instskip(NEXT) | instid1(VALU_DEP_1)
	v_min_u32_e32 v4, 32, v4
	v_subrev_nc_u32_e32 v17, 28, v4
	v_sub_nc_u32_e32 v4, 29, v4
	s_wait_alu 0xfffd
	s_delay_alu instid0(VALU_DEP_1) | instskip(NEXT) | instid1(VALU_DEP_1)
	v_dual_cndmask_b32 v4, v18, v4 :: v_dual_lshlrev_b32 v17, v17, v1
	v_and_b32_e32 v17, 7, v17
	s_delay_alu instid0(VALU_DEP_2) | instskip(NEXT) | instid1(VALU_DEP_2)
	v_lshl_add_u32 v4, v4, 10, 0x1c00
	v_cndmask_b32_e32 v3, v3, v17, vcc_lo
	s_delay_alu instid0(VALU_DEP_1) | instskip(NEXT) | instid1(VALU_DEP_1)
	v_lshlrev_b32_e32 v3, 7, v3
	v_or3_b32 v16, v16, v4, v3
.LBB3_44:
	s_or_b32 exec_lo, exec_lo, s12
	v_lshrrev_b32_e32 v18, 8, v1
	s_mov_b32 s4, 0
	s_mov_b32 s12, exec_lo
	s_delay_alu instid0(VALU_DEP_1) | instskip(NEXT) | instid1(VALU_DEP_1)
	v_and_b32_e32 v3, 0xff, v18
	v_cmpx_lt_i16_e32 0x7f, v3
	s_xor_b32 s12, exec_lo, s12
	s_cbranch_execz .LBB3_48
; %bb.45:
	s_mov_b32 s4, -1
	s_mov_b32 s13, exec_lo
	v_cmpx_eq_u16_e32 0x80, v3
; %bb.46:
	s_xor_b32 s4, exec_lo, -1
; %bb.47:
	s_or_b32 exec_lo, exec_lo, s13
	s_delay_alu instid0(SALU_CYCLE_1)
	s_and_b32 s4, s4, exec_lo
                                        ; implicit-def: $vgpr3
.LBB3_48:
	s_or_saveexec_b32 s12, s12
	v_mov_b32_e32 v17, 0x7c01
	s_xor_b32 exec_lo, exec_lo, s12
; %bb.49:
	v_cmp_ne_u16_e32 vcc_lo, 0, v3
	v_mov_b32_e32 v17, 0
	s_and_not1_b32 s4, s4, exec_lo
	s_and_b32 s13, vcc_lo, exec_lo
	s_delay_alu instid0(SALU_CYCLE_1)
	s_or_b32 s4, s4, s13
; %bb.50:
	s_or_b32 exec_lo, exec_lo, s12
	v_lshrrev_b64 v[3:4], 24, v[1:2]
	v_lshrrev_b32_e32 v4, 24, v2
	v_lshrrev_b32_e32 v23, 16, v2
	;; [unrolled: 1-line block ×4, first 2 shown]
	s_and_saveexec_b32 s12, s4
	s_cbranch_execz .LBB3_52
; %bb.51:
	v_and_b32_e32 v17, 7, v18
	v_lshrrev_b16 v20, 3, v18
	v_lshrrev_b16 v18, 7, v18
	s_delay_alu instid0(VALU_DEP_3) | instskip(NEXT) | instid1(VALU_DEP_1)
	v_clz_i32_u32_e32 v19, v17
	v_min_u32_e32 v19, 32, v19
	s_delay_alu instid0(VALU_DEP_1) | instskip(SKIP_1) | instid1(VALU_DEP_2)
	v_subrev_nc_u32_e32 v21, 28, v19
	v_sub_nc_u32_e32 v19, 29, v19
	v_lshlrev_b32_e32 v21, v21, v17
	s_delay_alu instid0(VALU_DEP_1) | instskip(SKIP_1) | instid1(VALU_DEP_1)
	v_and_b32_e32 v21, 7, v21
	v_and_b32_e32 v20, 15, v20
	v_cmp_eq_u16_e32 vcc_lo, 0, v20
	s_wait_alu 0xfffd
	s_delay_alu instid0(VALU_DEP_3) | instskip(SKIP_2) | instid1(VALU_DEP_3)
	v_cndmask_b32_e32 v17, v17, v21, vcc_lo
	v_and_b32_e32 v25, 0xffff, v20
	v_and_b32_e32 v18, 1, v18
	v_lshlrev_b32_e32 v17, 7, v17
	s_delay_alu instid0(VALU_DEP_2) | instskip(NEXT) | instid1(VALU_DEP_1)
	v_dual_cndmask_b32 v19, v25, v19 :: v_dual_lshlrev_b32 v18, 15, v18
	v_lshl_add_u32 v19, v19, 10, 0x1c00
	s_delay_alu instid0(VALU_DEP_1)
	v_or3_b32 v17, v18, v19, v17
.LBB3_52:
	s_or_b32 exec_lo, exec_lo, s12
	s_delay_alu instid0(VALU_DEP_1) | instskip(SKIP_2) | instid1(VALU_DEP_1)
	v_and_b32_e32 v19, 0xff, v1
	s_mov_b32 s4, 0
	s_mov_b32 s12, exec_lo
	v_cmpx_lt_i16_e32 0x7f, v19
	s_xor_b32 s12, exec_lo, s12
	s_cbranch_execnz .LBB3_435
; %bb.53:
	s_or_saveexec_b32 s12, s12
	v_mov_b32_e32 v18, 0x7c01
	s_xor_b32 exec_lo, exec_lo, s12
	s_cbranch_execnz .LBB3_438
.LBB3_54:
	s_or_b32 exec_lo, exec_lo, s12
	s_and_saveexec_b32 s12, s4
	s_cbranch_execz .LBB3_56
.LBB3_55:
	v_lshrrev_b16 v20, 3, v1
	s_delay_alu instid0(VALU_DEP_1) | instskip(NEXT) | instid1(VALU_DEP_1)
	v_and_b32_e32 v20, 15, v20
	v_cmp_eq_u16_e32 vcc_lo, 0, v20
	v_and_b32_e32 v25, 0xffff, v20
	v_and_b32_e32 v18, 7, v1
	v_lshrrev_b16 v1, 7, v1
	s_delay_alu instid0(VALU_DEP_2) | instskip(NEXT) | instid1(VALU_DEP_2)
	v_clz_i32_u32_e32 v19, v18
	v_and_b32_e32 v1, 1, v1
	s_delay_alu instid0(VALU_DEP_2) | instskip(NEXT) | instid1(VALU_DEP_2)
	v_min_u32_e32 v19, 32, v19
	v_lshlrev_b32_e32 v1, 15, v1
	s_delay_alu instid0(VALU_DEP_2) | instskip(SKIP_2) | instid1(VALU_DEP_1)
	v_subrev_nc_u32_e32 v21, 28, v19
	v_sub_nc_u32_e32 v19, 29, v19
	s_wait_alu 0xfffd
	v_cndmask_b32_e32 v19, v25, v19, vcc_lo
	s_delay_alu instid0(VALU_DEP_3) | instskip(NEXT) | instid1(VALU_DEP_2)
	v_lshlrev_b32_e32 v21, v21, v18
	v_lshl_add_u32 v19, v19, 10, 0x1c00
	s_delay_alu instid0(VALU_DEP_2) | instskip(NEXT) | instid1(VALU_DEP_1)
	v_and_b32_e32 v21, 7, v21
	v_cndmask_b32_e32 v18, v18, v21, vcc_lo
	s_delay_alu instid0(VALU_DEP_1) | instskip(NEXT) | instid1(VALU_DEP_1)
	v_lshlrev_b32_e32 v18, 7, v18
	v_or3_b32 v18, v1, v19, v18
.LBB3_56:
	s_or_b32 exec_lo, exec_lo, s12
	v_and_b32_e32 v1, 0xff, v3
	s_mov_b32 s4, 0
	s_mov_b32 s12, exec_lo
	s_delay_alu instid0(VALU_DEP_1)
	v_cmpx_lt_i16_e32 0x7f, v1
	s_xor_b32 s12, exec_lo, s12
	s_cbranch_execnz .LBB3_439
; %bb.57:
	s_or_saveexec_b32 s12, s12
	v_mov_b32_e32 v19, 0x7c01
	s_xor_b32 exec_lo, exec_lo, s12
	s_cbranch_execnz .LBB3_442
.LBB3_58:
	s_or_b32 exec_lo, exec_lo, s12
	s_and_saveexec_b32 s12, s4
	s_cbranch_execz .LBB3_60
.LBB3_59:
	v_and_b32_e32 v1, 7, v3
	v_lshrrev_b16 v20, 3, v3
	v_lshrrev_b16 v3, 7, v3
	s_delay_alu instid0(VALU_DEP_3) | instskip(NEXT) | instid1(VALU_DEP_2)
	v_clz_i32_u32_e32 v19, v1
	v_and_b32_e32 v3, 1, v3
	s_delay_alu instid0(VALU_DEP_2) | instskip(NEXT) | instid1(VALU_DEP_2)
	v_min_u32_e32 v19, 32, v19
	v_lshlrev_b32_e32 v3, 15, v3
	s_delay_alu instid0(VALU_DEP_2) | instskip(SKIP_1) | instid1(VALU_DEP_2)
	v_subrev_nc_u32_e32 v21, 28, v19
	v_sub_nc_u32_e32 v19, 29, v19
	v_lshlrev_b32_e32 v21, v21, v1
	s_delay_alu instid0(VALU_DEP_1) | instskip(SKIP_1) | instid1(VALU_DEP_1)
	v_and_b32_e32 v21, 7, v21
	v_and_b32_e32 v20, 15, v20
	v_cmp_eq_u16_e32 vcc_lo, 0, v20
	s_wait_alu 0xfffd
	s_delay_alu instid0(VALU_DEP_3) | instskip(SKIP_1) | instid1(VALU_DEP_2)
	v_cndmask_b32_e32 v1, v1, v21, vcc_lo
	v_and_b32_e32 v25, 0xffff, v20
	v_lshlrev_b32_e32 v1, 7, v1
	s_delay_alu instid0(VALU_DEP_2) | instskip(NEXT) | instid1(VALU_DEP_1)
	v_cndmask_b32_e32 v19, v25, v19, vcc_lo
	v_lshl_add_u32 v19, v19, 10, 0x1c00
	s_delay_alu instid0(VALU_DEP_1)
	v_or3_b32 v19, v3, v19, v1
.LBB3_60:
	s_or_b32 exec_lo, exec_lo, s12
	v_and_b32_e32 v1, 0xff, v2
	s_mov_b32 s4, 0
	s_mov_b32 s12, exec_lo
	s_delay_alu instid0(VALU_DEP_1)
	v_cmpx_lt_i16_e32 0x7f, v1
	s_xor_b32 s12, exec_lo, s12
	s_cbranch_execnz .LBB3_443
; %bb.61:
	s_or_saveexec_b32 s12, s12
	v_mov_b32_e32 v20, 0x7c01
	s_xor_b32 exec_lo, exec_lo, s12
	s_cbranch_execnz .LBB3_446
.LBB3_62:
	s_or_b32 exec_lo, exec_lo, s12
	s_and_saveexec_b32 s12, s4
	s_cbranch_execz .LBB3_64
.LBB3_63:
	v_and_b32_e32 v1, 7, v2
	v_lshrrev_b16 v20, 3, v2
	s_delay_alu instid0(VALU_DEP_2) | instskip(NEXT) | instid1(VALU_DEP_1)
	v_clz_i32_u32_e32 v3, v1
	v_min_u32_e32 v3, 32, v3
	s_delay_alu instid0(VALU_DEP_1) | instskip(SKIP_1) | instid1(VALU_DEP_2)
	v_subrev_nc_u32_e32 v21, 28, v3
	v_sub_nc_u32_e32 v3, 29, v3
	v_lshlrev_b32_e32 v21, v21, v2
	s_delay_alu instid0(VALU_DEP_1) | instskip(SKIP_1) | instid1(VALU_DEP_1)
	v_and_b32_e32 v21, 7, v21
	v_and_b32_e32 v20, 15, v20
	v_cmp_eq_u16_e32 vcc_lo, 0, v20
	s_wait_alu 0xfffd
	s_delay_alu instid0(VALU_DEP_3) | instskip(SKIP_2) | instid1(VALU_DEP_3)
	v_cndmask_b32_e32 v1, v1, v21, vcc_lo
	v_and_b32_e32 v25, 0xffff, v20
	v_lshlrev_b32_e32 v2, 8, v2
	v_lshlrev_b32_e32 v1, 7, v1
	s_delay_alu instid0(VALU_DEP_2) | instskip(NEXT) | instid1(VALU_DEP_1)
	v_dual_cndmask_b32 v3, v25, v3 :: v_dual_and_b32 v2, 0x8000, v2
	v_lshl_add_u32 v3, v3, 10, 0x1c00
	s_delay_alu instid0(VALU_DEP_1)
	v_or3_b32 v20, v2, v3, v1
.LBB3_64:
	s_or_b32 exec_lo, exec_lo, s12
	v_and_b32_e32 v1, 0xff, v22
	s_mov_b32 s4, 0
	s_mov_b32 s12, exec_lo
	s_delay_alu instid0(VALU_DEP_1)
	v_cmpx_lt_i16_e32 0x7f, v1
	s_xor_b32 s12, exec_lo, s12
	s_cbranch_execnz .LBB3_447
; %bb.65:
	s_or_saveexec_b32 s12, s12
	v_mov_b32_e32 v21, 0x7c01
	s_xor_b32 exec_lo, exec_lo, s12
	s_cbranch_execnz .LBB3_450
.LBB3_66:
	s_or_b32 exec_lo, exec_lo, s12
	s_and_saveexec_b32 s12, s4
	s_cbranch_execz .LBB3_68
.LBB3_67:
	v_and_b32_e32 v1, 7, v22
	v_lshrrev_b16 v3, 3, v22
	v_lshrrev_b16 v22, 7, v22
	s_delay_alu instid0(VALU_DEP_3) | instskip(NEXT) | instid1(VALU_DEP_1)
	v_clz_i32_u32_e32 v2, v1
	v_min_u32_e32 v2, 32, v2
	s_delay_alu instid0(VALU_DEP_1) | instskip(SKIP_2) | instid1(VALU_DEP_3)
	v_subrev_nc_u32_e32 v21, 28, v2
	v_sub_nc_u32_e32 v2, 29, v2
	v_and_b32_e32 v3, 15, v3
	v_lshlrev_b32_e32 v21, v21, v1
	s_delay_alu instid0(VALU_DEP_2) | instskip(SKIP_3) | instid1(VALU_DEP_3)
	v_and_b32_e32 v25, 0xffff, v3
	v_cmp_eq_u16_e32 vcc_lo, 0, v3
	v_and_b32_e32 v3, 1, v22
	s_wait_alu 0xfffd
	v_dual_cndmask_b32 v2, v25, v2 :: v_dual_and_b32 v21, 7, v21
	s_delay_alu instid0(VALU_DEP_2) | instskip(NEXT) | instid1(VALU_DEP_2)
	v_lshlrev_b32_e32 v3, 15, v3
	v_cndmask_b32_e32 v1, v1, v21, vcc_lo
	s_delay_alu instid0(VALU_DEP_3) | instskip(NEXT) | instid1(VALU_DEP_2)
	v_lshl_add_u32 v2, v2, 10, 0x1c00
	v_lshlrev_b32_e32 v1, 7, v1
	s_delay_alu instid0(VALU_DEP_1)
	v_or3_b32 v21, v3, v2, v1
.LBB3_68:
	s_or_b32 exec_lo, exec_lo, s12
	v_and_b32_e32 v1, 0xff, v23
	s_mov_b32 s4, 0
	s_mov_b32 s12, exec_lo
	s_delay_alu instid0(VALU_DEP_1)
	v_cmpx_lt_i16_e32 0x7f, v1
	s_xor_b32 s12, exec_lo, s12
	s_cbranch_execnz .LBB3_451
; %bb.69:
	s_or_saveexec_b32 s12, s12
	v_mov_b32_e32 v22, 0x7c01
	s_xor_b32 exec_lo, exec_lo, s12
	s_cbranch_execnz .LBB3_454
.LBB3_70:
	s_or_b32 exec_lo, exec_lo, s12
	s_and_saveexec_b32 s12, s4
	s_cbranch_execz .LBB3_72
.LBB3_71:
	v_lshrrev_b16 v3, 3, v23
	s_delay_alu instid0(VALU_DEP_1) | instskip(NEXT) | instid1(VALU_DEP_1)
	v_and_b32_e32 v3, 15, v3
	v_and_b32_e32 v25, 0xffff, v3
	v_cmp_eq_u16_e32 vcc_lo, 0, v3
	v_and_b32_e32 v1, 7, v23
	v_lshrrev_b16 v23, 7, v23
	s_delay_alu instid0(VALU_DEP_2) | instskip(NEXT) | instid1(VALU_DEP_2)
	v_clz_i32_u32_e32 v2, v1
	v_and_b32_e32 v3, 1, v23
	s_delay_alu instid0(VALU_DEP_2) | instskip(NEXT) | instid1(VALU_DEP_2)
	v_min_u32_e32 v2, 32, v2
	v_lshlrev_b32_e32 v3, 15, v3
	s_delay_alu instid0(VALU_DEP_2) | instskip(SKIP_2) | instid1(VALU_DEP_1)
	v_subrev_nc_u32_e32 v22, 28, v2
	v_sub_nc_u32_e32 v2, 29, v2
	s_wait_alu 0xfffd
	v_cndmask_b32_e32 v2, v25, v2, vcc_lo
	s_delay_alu instid0(VALU_DEP_3) | instskip(NEXT) | instid1(VALU_DEP_2)
	v_lshlrev_b32_e32 v22, v22, v1
	v_lshl_add_u32 v2, v2, 10, 0x1c00
	s_delay_alu instid0(VALU_DEP_2) | instskip(NEXT) | instid1(VALU_DEP_1)
	v_and_b32_e32 v22, 7, v22
	v_cndmask_b32_e32 v1, v1, v22, vcc_lo
	s_delay_alu instid0(VALU_DEP_1) | instskip(NEXT) | instid1(VALU_DEP_1)
	v_lshlrev_b32_e32 v1, 7, v1
	v_or3_b32 v22, v3, v2, v1
.LBB3_72:
	s_or_b32 exec_lo, exec_lo, s12
	s_mov_b32 s12, 0
	s_mov_b32 s4, exec_lo
	v_cmpx_lt_i16_e32 0x7f, v4
	s_xor_b32 s4, exec_lo, s4
	s_cbranch_execnz .LBB3_455
; %bb.73:
	s_or_saveexec_b32 s4, s4
	v_mov_b32_e32 v23, 0x7c01
	s_xor_b32 exec_lo, exec_lo, s4
	s_cbranch_execnz .LBB3_458
.LBB3_74:
	s_or_b32 exec_lo, exec_lo, s4
	s_and_saveexec_b32 s4, s12
	s_cbranch_execz .LBB3_76
.LBB3_75:
	v_lshrrev_b16 v3, 3, v4
	s_delay_alu instid0(VALU_DEP_1) | instskip(NEXT) | instid1(VALU_DEP_1)
	v_and_b32_e32 v3, 15, v3
	v_and_b32_e32 v25, 0xffff, v3
	v_cmp_eq_u16_e32 vcc_lo, 0, v3
	v_and_b32_e32 v1, 7, v4
	v_lshrrev_b16 v3, 7, v4
	s_delay_alu instid0(VALU_DEP_2) | instskip(NEXT) | instid1(VALU_DEP_2)
	v_clz_i32_u32_e32 v2, v1
	v_lshlrev_b32_e32 v3, 15, v3
	s_delay_alu instid0(VALU_DEP_2) | instskip(NEXT) | instid1(VALU_DEP_1)
	v_min_u32_e32 v2, 32, v2
	v_subrev_nc_u32_e32 v23, 28, v2
	v_sub_nc_u32_e32 v2, 29, v2
	s_wait_alu 0xfffd
	s_delay_alu instid0(VALU_DEP_1) | instskip(NEXT) | instid1(VALU_DEP_1)
	v_dual_cndmask_b32 v2, v25, v2 :: v_dual_lshlrev_b32 v23, v23, v1
	v_lshl_add_u32 v2, v2, 10, 0x1c00
	s_delay_alu instid0(VALU_DEP_2) | instskip(NEXT) | instid1(VALU_DEP_1)
	v_and_b32_e32 v23, 7, v23
	v_cndmask_b32_e32 v1, v1, v23, vcc_lo
	s_delay_alu instid0(VALU_DEP_1) | instskip(NEXT) | instid1(VALU_DEP_1)
	v_lshlrev_b32_e32 v1, 7, v1
	v_or3_b32 v23, v3, v2, v1
.LBB3_76:
	s_or_b32 exec_lo, exec_lo, s4
	v_add_nc_u32_e32 v32, s7, v24
	s_mov_b32 s12, s8
	s_mov_b32 s13, s9
	;; [unrolled: 1-line block ×3, first 2 shown]
	buffer_load_b64 v[1:2], v32, s[12:15], null offen
	s_mov_b32 s12, exec_lo
	s_wait_loadcnt 0x0
	v_and_b32_e32 v3, 0xff, v1
	s_delay_alu instid0(VALU_DEP_1)
	v_cmpx_lt_i16_e32 0x7f, v3
	s_xor_b32 s12, exec_lo, s12
	s_cbranch_execnz .LBB3_459
; %bb.77:
	s_or_saveexec_b32 s12, s12
	v_mov_b32_e32 v24, 0x7c01
	s_xor_b32 exec_lo, exec_lo, s12
	s_cbranch_execnz .LBB3_462
.LBB3_78:
	s_or_b32 exec_lo, exec_lo, s12
	s_and_saveexec_b32 s12, s4
	s_cbranch_execz .LBB3_80
.LBB3_79:
	v_lshrrev_b16 v24, 3, v1
	s_delay_alu instid0(VALU_DEP_1) | instskip(NEXT) | instid1(VALU_DEP_1)
	v_and_b32_e32 v24, 15, v24
	v_and_b32_e32 v26, 0xffff, v24
	v_cmp_eq_u16_e32 vcc_lo, 0, v24
	v_and_b32_e32 v3, 7, v1
	v_lshlrev_b32_e32 v24, 8, v1
	s_delay_alu instid0(VALU_DEP_2) | instskip(NEXT) | instid1(VALU_DEP_2)
	v_clz_i32_u32_e32 v4, v3
	v_and_b32_e32 v24, 0x8000, v24
	s_delay_alu instid0(VALU_DEP_2) | instskip(NEXT) | instid1(VALU_DEP_1)
	v_min_u32_e32 v4, 32, v4
	v_subrev_nc_u32_e32 v25, 28, v4
	v_sub_nc_u32_e32 v4, 29, v4
	s_wait_alu 0xfffd
	s_delay_alu instid0(VALU_DEP_1) | instskip(NEXT) | instid1(VALU_DEP_1)
	v_dual_cndmask_b32 v4, v26, v4 :: v_dual_lshlrev_b32 v25, v25, v1
	v_and_b32_e32 v25, 7, v25
	s_delay_alu instid0(VALU_DEP_2) | instskip(NEXT) | instid1(VALU_DEP_2)
	v_lshl_add_u32 v4, v4, 10, 0x1c00
	v_cndmask_b32_e32 v3, v3, v25, vcc_lo
	s_delay_alu instid0(VALU_DEP_1) | instskip(NEXT) | instid1(VALU_DEP_1)
	v_lshlrev_b32_e32 v3, 7, v3
	v_or3_b32 v24, v24, v4, v3
.LBB3_80:
	s_or_b32 exec_lo, exec_lo, s12
	v_lshrrev_b32_e32 v26, 8, v1
	s_mov_b32 s4, 0
	s_mov_b32 s12, exec_lo
	s_delay_alu instid0(VALU_DEP_1) | instskip(NEXT) | instid1(VALU_DEP_1)
	v_and_b32_e32 v3, 0xff, v26
	v_cmpx_lt_i16_e32 0x7f, v3
	s_xor_b32 s12, exec_lo, s12
	s_cbranch_execz .LBB3_84
; %bb.81:
	s_mov_b32 s4, -1
	s_mov_b32 s13, exec_lo
	v_cmpx_eq_u16_e32 0x80, v3
; %bb.82:
	s_xor_b32 s4, exec_lo, -1
; %bb.83:
	s_or_b32 exec_lo, exec_lo, s13
	s_delay_alu instid0(SALU_CYCLE_1)
	s_and_b32 s4, s4, exec_lo
                                        ; implicit-def: $vgpr3
.LBB3_84:
	s_or_saveexec_b32 s12, s12
	v_mov_b32_e32 v25, 0x7c01
	s_xor_b32 exec_lo, exec_lo, s12
; %bb.85:
	v_cmp_ne_u16_e32 vcc_lo, 0, v3
	v_mov_b32_e32 v25, 0
	s_and_not1_b32 s4, s4, exec_lo
	s_and_b32 s13, vcc_lo, exec_lo
	s_delay_alu instid0(SALU_CYCLE_1)
	s_or_b32 s4, s4, s13
; %bb.86:
	s_or_b32 exec_lo, exec_lo, s12
	v_lshrrev_b64 v[3:4], 24, v[1:2]
	v_lshrrev_b32_e32 v4, 24, v2
	v_lshrrev_b32_e32 v31, 16, v2
	;; [unrolled: 1-line block ×4, first 2 shown]
	s_and_saveexec_b32 s12, s4
	s_cbranch_execz .LBB3_88
; %bb.87:
	v_and_b32_e32 v25, 7, v26
	v_lshrrev_b16 v28, 3, v26
	v_lshrrev_b16 v26, 7, v26
	s_delay_alu instid0(VALU_DEP_3) | instskip(NEXT) | instid1(VALU_DEP_1)
	v_clz_i32_u32_e32 v27, v25
	v_min_u32_e32 v27, 32, v27
	s_delay_alu instid0(VALU_DEP_1) | instskip(SKIP_1) | instid1(VALU_DEP_2)
	v_subrev_nc_u32_e32 v29, 28, v27
	v_sub_nc_u32_e32 v27, 29, v27
	v_lshlrev_b32_e32 v29, v29, v25
	s_delay_alu instid0(VALU_DEP_1) | instskip(SKIP_1) | instid1(VALU_DEP_1)
	v_and_b32_e32 v29, 7, v29
	v_and_b32_e32 v28, 15, v28
	v_cmp_eq_u16_e32 vcc_lo, 0, v28
	s_wait_alu 0xfffd
	s_delay_alu instid0(VALU_DEP_3) | instskip(SKIP_2) | instid1(VALU_DEP_3)
	v_cndmask_b32_e32 v25, v25, v29, vcc_lo
	v_and_b32_e32 v33, 0xffff, v28
	v_and_b32_e32 v26, 1, v26
	v_lshlrev_b32_e32 v25, 7, v25
	s_delay_alu instid0(VALU_DEP_2) | instskip(NEXT) | instid1(VALU_DEP_1)
	v_dual_cndmask_b32 v27, v33, v27 :: v_dual_lshlrev_b32 v26, 15, v26
	v_lshl_add_u32 v27, v27, 10, 0x1c00
	s_delay_alu instid0(VALU_DEP_1)
	v_or3_b32 v25, v26, v27, v25
.LBB3_88:
	s_or_b32 exec_lo, exec_lo, s12
	s_delay_alu instid0(VALU_DEP_1) | instskip(SKIP_2) | instid1(VALU_DEP_1)
	v_and_b32_e32 v27, 0xff, v1
	s_mov_b32 s4, 0
	s_mov_b32 s12, exec_lo
	v_cmpx_lt_i16_e32 0x7f, v27
	s_xor_b32 s12, exec_lo, s12
	s_cbranch_execnz .LBB3_463
; %bb.89:
	s_or_saveexec_b32 s12, s12
	v_mov_b32_e32 v26, 0x7c01
	s_xor_b32 exec_lo, exec_lo, s12
	s_cbranch_execnz .LBB3_466
.LBB3_90:
	s_or_b32 exec_lo, exec_lo, s12
	s_and_saveexec_b32 s12, s4
	s_cbranch_execz .LBB3_92
.LBB3_91:
	v_lshrrev_b16 v28, 3, v1
	s_delay_alu instid0(VALU_DEP_1) | instskip(NEXT) | instid1(VALU_DEP_1)
	v_and_b32_e32 v28, 15, v28
	v_cmp_eq_u16_e32 vcc_lo, 0, v28
	v_and_b32_e32 v33, 0xffff, v28
	v_and_b32_e32 v26, 7, v1
	v_lshrrev_b16 v1, 7, v1
	s_delay_alu instid0(VALU_DEP_2) | instskip(NEXT) | instid1(VALU_DEP_2)
	v_clz_i32_u32_e32 v27, v26
	v_and_b32_e32 v1, 1, v1
	s_delay_alu instid0(VALU_DEP_2) | instskip(NEXT) | instid1(VALU_DEP_2)
	v_min_u32_e32 v27, 32, v27
	v_lshlrev_b32_e32 v1, 15, v1
	s_delay_alu instid0(VALU_DEP_2) | instskip(SKIP_2) | instid1(VALU_DEP_1)
	v_subrev_nc_u32_e32 v29, 28, v27
	v_sub_nc_u32_e32 v27, 29, v27
	s_wait_alu 0xfffd
	v_cndmask_b32_e32 v27, v33, v27, vcc_lo
	s_delay_alu instid0(VALU_DEP_3) | instskip(NEXT) | instid1(VALU_DEP_2)
	v_lshlrev_b32_e32 v29, v29, v26
	v_lshl_add_u32 v27, v27, 10, 0x1c00
	s_delay_alu instid0(VALU_DEP_2) | instskip(NEXT) | instid1(VALU_DEP_1)
	v_and_b32_e32 v29, 7, v29
	v_cndmask_b32_e32 v26, v26, v29, vcc_lo
	s_delay_alu instid0(VALU_DEP_1) | instskip(NEXT) | instid1(VALU_DEP_1)
	v_lshlrev_b32_e32 v26, 7, v26
	v_or3_b32 v26, v1, v27, v26
.LBB3_92:
	s_or_b32 exec_lo, exec_lo, s12
	v_and_b32_e32 v1, 0xff, v3
	s_mov_b32 s4, 0
	s_mov_b32 s12, exec_lo
	s_delay_alu instid0(VALU_DEP_1)
	v_cmpx_lt_i16_e32 0x7f, v1
	s_xor_b32 s12, exec_lo, s12
	s_cbranch_execnz .LBB3_467
; %bb.93:
	s_or_saveexec_b32 s12, s12
	v_mov_b32_e32 v27, 0x7c01
	s_xor_b32 exec_lo, exec_lo, s12
	s_cbranch_execnz .LBB3_470
.LBB3_94:
	s_or_b32 exec_lo, exec_lo, s12
	s_and_saveexec_b32 s12, s4
	s_cbranch_execz .LBB3_96
.LBB3_95:
	v_and_b32_e32 v1, 7, v3
	v_lshrrev_b16 v28, 3, v3
	v_lshrrev_b16 v3, 7, v3
	s_delay_alu instid0(VALU_DEP_3) | instskip(NEXT) | instid1(VALU_DEP_2)
	v_clz_i32_u32_e32 v27, v1
	v_and_b32_e32 v3, 1, v3
	s_delay_alu instid0(VALU_DEP_2) | instskip(NEXT) | instid1(VALU_DEP_2)
	v_min_u32_e32 v27, 32, v27
	v_lshlrev_b32_e32 v3, 15, v3
	s_delay_alu instid0(VALU_DEP_2) | instskip(SKIP_1) | instid1(VALU_DEP_2)
	v_subrev_nc_u32_e32 v29, 28, v27
	v_sub_nc_u32_e32 v27, 29, v27
	v_lshlrev_b32_e32 v29, v29, v1
	s_delay_alu instid0(VALU_DEP_1) | instskip(SKIP_1) | instid1(VALU_DEP_1)
	v_and_b32_e32 v29, 7, v29
	v_and_b32_e32 v28, 15, v28
	v_cmp_eq_u16_e32 vcc_lo, 0, v28
	s_wait_alu 0xfffd
	s_delay_alu instid0(VALU_DEP_3) | instskip(SKIP_1) | instid1(VALU_DEP_2)
	v_cndmask_b32_e32 v1, v1, v29, vcc_lo
	v_and_b32_e32 v33, 0xffff, v28
	v_lshlrev_b32_e32 v1, 7, v1
	s_delay_alu instid0(VALU_DEP_2) | instskip(NEXT) | instid1(VALU_DEP_1)
	v_cndmask_b32_e32 v27, v33, v27, vcc_lo
	v_lshl_add_u32 v27, v27, 10, 0x1c00
	s_delay_alu instid0(VALU_DEP_1)
	v_or3_b32 v27, v3, v27, v1
.LBB3_96:
	s_or_b32 exec_lo, exec_lo, s12
	v_and_b32_e32 v1, 0xff, v2
	s_mov_b32 s4, 0
	s_mov_b32 s12, exec_lo
	s_delay_alu instid0(VALU_DEP_1)
	v_cmpx_lt_i16_e32 0x7f, v1
	s_xor_b32 s12, exec_lo, s12
	s_cbranch_execnz .LBB3_471
; %bb.97:
	s_or_saveexec_b32 s12, s12
	v_mov_b32_e32 v28, 0x7c01
	s_xor_b32 exec_lo, exec_lo, s12
	s_cbranch_execnz .LBB3_474
.LBB3_98:
	s_or_b32 exec_lo, exec_lo, s12
	s_and_saveexec_b32 s12, s4
	s_cbranch_execz .LBB3_100
.LBB3_99:
	v_and_b32_e32 v1, 7, v2
	v_lshrrev_b16 v28, 3, v2
	s_delay_alu instid0(VALU_DEP_2) | instskip(NEXT) | instid1(VALU_DEP_1)
	v_clz_i32_u32_e32 v3, v1
	v_min_u32_e32 v3, 32, v3
	s_delay_alu instid0(VALU_DEP_1) | instskip(SKIP_1) | instid1(VALU_DEP_2)
	v_subrev_nc_u32_e32 v29, 28, v3
	v_sub_nc_u32_e32 v3, 29, v3
	v_lshlrev_b32_e32 v29, v29, v2
	s_delay_alu instid0(VALU_DEP_1) | instskip(SKIP_1) | instid1(VALU_DEP_1)
	v_and_b32_e32 v29, 7, v29
	v_and_b32_e32 v28, 15, v28
	v_cmp_eq_u16_e32 vcc_lo, 0, v28
	s_wait_alu 0xfffd
	s_delay_alu instid0(VALU_DEP_3) | instskip(SKIP_2) | instid1(VALU_DEP_3)
	v_cndmask_b32_e32 v1, v1, v29, vcc_lo
	v_and_b32_e32 v33, 0xffff, v28
	v_lshlrev_b32_e32 v2, 8, v2
	v_lshlrev_b32_e32 v1, 7, v1
	s_delay_alu instid0(VALU_DEP_2) | instskip(NEXT) | instid1(VALU_DEP_1)
	v_dual_cndmask_b32 v3, v33, v3 :: v_dual_and_b32 v2, 0x8000, v2
	v_lshl_add_u32 v3, v3, 10, 0x1c00
	s_delay_alu instid0(VALU_DEP_1)
	v_or3_b32 v28, v2, v3, v1
.LBB3_100:
	s_or_b32 exec_lo, exec_lo, s12
	v_and_b32_e32 v1, 0xff, v30
	s_mov_b32 s4, 0
	s_mov_b32 s12, exec_lo
	s_delay_alu instid0(VALU_DEP_1)
	v_cmpx_lt_i16_e32 0x7f, v1
	s_xor_b32 s12, exec_lo, s12
	s_cbranch_execnz .LBB3_475
; %bb.101:
	s_or_saveexec_b32 s12, s12
	v_mov_b32_e32 v29, 0x7c01
	s_xor_b32 exec_lo, exec_lo, s12
	s_cbranch_execnz .LBB3_478
.LBB3_102:
	s_or_b32 exec_lo, exec_lo, s12
	s_and_saveexec_b32 s12, s4
	s_cbranch_execz .LBB3_104
.LBB3_103:
	v_and_b32_e32 v1, 7, v30
	v_lshrrev_b16 v3, 3, v30
	v_lshrrev_b16 v30, 7, v30
	s_delay_alu instid0(VALU_DEP_3) | instskip(NEXT) | instid1(VALU_DEP_1)
	v_clz_i32_u32_e32 v2, v1
	v_min_u32_e32 v2, 32, v2
	s_delay_alu instid0(VALU_DEP_1) | instskip(SKIP_2) | instid1(VALU_DEP_3)
	v_subrev_nc_u32_e32 v29, 28, v2
	v_sub_nc_u32_e32 v2, 29, v2
	v_and_b32_e32 v3, 15, v3
	v_lshlrev_b32_e32 v29, v29, v1
	s_delay_alu instid0(VALU_DEP_2) | instskip(SKIP_3) | instid1(VALU_DEP_3)
	v_and_b32_e32 v33, 0xffff, v3
	v_cmp_eq_u16_e32 vcc_lo, 0, v3
	v_and_b32_e32 v3, 1, v30
	s_wait_alu 0xfffd
	v_dual_cndmask_b32 v2, v33, v2 :: v_dual_and_b32 v29, 7, v29
	s_delay_alu instid0(VALU_DEP_2) | instskip(NEXT) | instid1(VALU_DEP_2)
	v_lshlrev_b32_e32 v3, 15, v3
	v_cndmask_b32_e32 v1, v1, v29, vcc_lo
	s_delay_alu instid0(VALU_DEP_3) | instskip(NEXT) | instid1(VALU_DEP_2)
	v_lshl_add_u32 v2, v2, 10, 0x1c00
	v_lshlrev_b32_e32 v1, 7, v1
	s_delay_alu instid0(VALU_DEP_1)
	v_or3_b32 v29, v3, v2, v1
.LBB3_104:
	s_or_b32 exec_lo, exec_lo, s12
	v_and_b32_e32 v1, 0xff, v31
	s_mov_b32 s4, 0
	s_mov_b32 s12, exec_lo
	s_delay_alu instid0(VALU_DEP_1)
	v_cmpx_lt_i16_e32 0x7f, v1
	s_xor_b32 s12, exec_lo, s12
	s_cbranch_execnz .LBB3_479
; %bb.105:
	s_or_saveexec_b32 s12, s12
	v_mov_b32_e32 v30, 0x7c01
	s_xor_b32 exec_lo, exec_lo, s12
	s_cbranch_execnz .LBB3_482
.LBB3_106:
	s_or_b32 exec_lo, exec_lo, s12
	s_and_saveexec_b32 s12, s4
	s_cbranch_execz .LBB3_108
.LBB3_107:
	v_lshrrev_b16 v3, 3, v31
	s_delay_alu instid0(VALU_DEP_1) | instskip(NEXT) | instid1(VALU_DEP_1)
	v_and_b32_e32 v3, 15, v3
	v_and_b32_e32 v33, 0xffff, v3
	v_cmp_eq_u16_e32 vcc_lo, 0, v3
	v_and_b32_e32 v1, 7, v31
	v_lshrrev_b16 v31, 7, v31
	s_delay_alu instid0(VALU_DEP_2) | instskip(NEXT) | instid1(VALU_DEP_2)
	v_clz_i32_u32_e32 v2, v1
	v_and_b32_e32 v3, 1, v31
	s_delay_alu instid0(VALU_DEP_2) | instskip(NEXT) | instid1(VALU_DEP_2)
	v_min_u32_e32 v2, 32, v2
	v_lshlrev_b32_e32 v3, 15, v3
	s_delay_alu instid0(VALU_DEP_2) | instskip(SKIP_2) | instid1(VALU_DEP_1)
	v_subrev_nc_u32_e32 v30, 28, v2
	v_sub_nc_u32_e32 v2, 29, v2
	s_wait_alu 0xfffd
	v_cndmask_b32_e32 v2, v33, v2, vcc_lo
	s_delay_alu instid0(VALU_DEP_3) | instskip(NEXT) | instid1(VALU_DEP_2)
	v_lshlrev_b32_e32 v30, v30, v1
	v_lshl_add_u32 v2, v2, 10, 0x1c00
	s_delay_alu instid0(VALU_DEP_2) | instskip(NEXT) | instid1(VALU_DEP_1)
	v_and_b32_e32 v30, 7, v30
	v_cndmask_b32_e32 v1, v1, v30, vcc_lo
	s_delay_alu instid0(VALU_DEP_1) | instskip(NEXT) | instid1(VALU_DEP_1)
	v_lshlrev_b32_e32 v1, 7, v1
	v_or3_b32 v30, v3, v2, v1
.LBB3_108:
	s_or_b32 exec_lo, exec_lo, s12
	s_mov_b32 s12, 0
	s_mov_b32 s4, exec_lo
	v_cmpx_lt_i16_e32 0x7f, v4
	s_xor_b32 s4, exec_lo, s4
	s_cbranch_execnz .LBB3_483
; %bb.109:
	s_or_saveexec_b32 s4, s4
	v_mov_b32_e32 v31, 0x7c01
	s_xor_b32 exec_lo, exec_lo, s4
	s_cbranch_execnz .LBB3_486
.LBB3_110:
	s_or_b32 exec_lo, exec_lo, s4
	s_and_saveexec_b32 s4, s12
	s_cbranch_execz .LBB3_112
.LBB3_111:
	v_lshrrev_b16 v3, 3, v4
	s_delay_alu instid0(VALU_DEP_1) | instskip(NEXT) | instid1(VALU_DEP_1)
	v_and_b32_e32 v3, 15, v3
	v_and_b32_e32 v33, 0xffff, v3
	v_cmp_eq_u16_e32 vcc_lo, 0, v3
	v_and_b32_e32 v1, 7, v4
	v_lshrrev_b16 v3, 7, v4
	s_delay_alu instid0(VALU_DEP_2) | instskip(NEXT) | instid1(VALU_DEP_2)
	v_clz_i32_u32_e32 v2, v1
	v_lshlrev_b32_e32 v3, 15, v3
	s_delay_alu instid0(VALU_DEP_2) | instskip(NEXT) | instid1(VALU_DEP_1)
	v_min_u32_e32 v2, 32, v2
	v_subrev_nc_u32_e32 v31, 28, v2
	v_sub_nc_u32_e32 v2, 29, v2
	s_wait_alu 0xfffd
	s_delay_alu instid0(VALU_DEP_1) | instskip(NEXT) | instid1(VALU_DEP_1)
	v_dual_cndmask_b32 v2, v33, v2 :: v_dual_lshlrev_b32 v31, v31, v1
	v_lshl_add_u32 v2, v2, 10, 0x1c00
	s_delay_alu instid0(VALU_DEP_2) | instskip(NEXT) | instid1(VALU_DEP_1)
	v_and_b32_e32 v31, 7, v31
	v_cndmask_b32_e32 v1, v1, v31, vcc_lo
	s_delay_alu instid0(VALU_DEP_1) | instskip(NEXT) | instid1(VALU_DEP_1)
	v_lshlrev_b32_e32 v1, 7, v1
	v_or3_b32 v31, v3, v2, v1
.LBB3_112:
	s_or_b32 exec_lo, exec_lo, s4
	v_add_nc_u32_e32 v1, s7, v32
	s_mov_b32 s12, s8
	s_mov_b32 s13, s9
	;; [unrolled: 1-line block ×3, first 2 shown]
	buffer_load_b64 v[1:2], v1, s[12:15], null offen
	s_mov_b32 s12, exec_lo
	s_wait_loadcnt 0x0
	v_and_b32_e32 v3, 0xff, v1
	s_delay_alu instid0(VALU_DEP_1)
	v_cmpx_lt_i16_e32 0x7f, v3
	s_xor_b32 s12, exec_lo, s12
	s_cbranch_execnz .LBB3_487
; %bb.113:
	s_or_saveexec_b32 s12, s12
	v_mov_b32_e32 v32, 0x7c01
	s_xor_b32 exec_lo, exec_lo, s12
	s_cbranch_execnz .LBB3_490
.LBB3_114:
	s_or_b32 exec_lo, exec_lo, s12
	s_and_saveexec_b32 s12, s4
	s_cbranch_execz .LBB3_116
.LBB3_115:
	v_lshrrev_b16 v32, 3, v1
	s_delay_alu instid0(VALU_DEP_1) | instskip(NEXT) | instid1(VALU_DEP_1)
	v_and_b32_e32 v32, 15, v32
	v_and_b32_e32 v34, 0xffff, v32
	v_cmp_eq_u16_e32 vcc_lo, 0, v32
	v_and_b32_e32 v3, 7, v1
	v_lshlrev_b32_e32 v32, 8, v1
	s_delay_alu instid0(VALU_DEP_2) | instskip(NEXT) | instid1(VALU_DEP_2)
	v_clz_i32_u32_e32 v4, v3
	v_and_b32_e32 v32, 0x8000, v32
	s_delay_alu instid0(VALU_DEP_2) | instskip(NEXT) | instid1(VALU_DEP_1)
	v_min_u32_e32 v4, 32, v4
	v_subrev_nc_u32_e32 v33, 28, v4
	v_sub_nc_u32_e32 v4, 29, v4
	s_wait_alu 0xfffd
	s_delay_alu instid0(VALU_DEP_1) | instskip(NEXT) | instid1(VALU_DEP_1)
	v_dual_cndmask_b32 v4, v34, v4 :: v_dual_lshlrev_b32 v33, v33, v1
	v_and_b32_e32 v33, 7, v33
	s_delay_alu instid0(VALU_DEP_2) | instskip(NEXT) | instid1(VALU_DEP_2)
	v_lshl_add_u32 v4, v4, 10, 0x1c00
	v_cndmask_b32_e32 v3, v3, v33, vcc_lo
	s_delay_alu instid0(VALU_DEP_1) | instskip(NEXT) | instid1(VALU_DEP_1)
	v_lshlrev_b32_e32 v3, 7, v3
	v_or3_b32 v32, v32, v4, v3
.LBB3_116:
	s_or_b32 exec_lo, exec_lo, s12
	v_lshrrev_b32_e32 v37, 8, v1
	s_mov_b32 s4, 0
	s_mov_b32 s12, exec_lo
	s_delay_alu instid0(VALU_DEP_1) | instskip(NEXT) | instid1(VALU_DEP_1)
	v_and_b32_e32 v3, 0xff, v37
	v_cmpx_lt_i16_e32 0x7f, v3
	s_xor_b32 s12, exec_lo, s12
	s_cbranch_execz .LBB3_120
; %bb.117:
	s_mov_b32 s4, -1
	s_mov_b32 s13, exec_lo
	v_cmpx_eq_u16_e32 0x80, v3
; %bb.118:
	s_xor_b32 s4, exec_lo, -1
; %bb.119:
	s_or_b32 exec_lo, exec_lo, s13
	s_delay_alu instid0(SALU_CYCLE_1)
	s_and_b32 s4, s4, exec_lo
                                        ; implicit-def: $vgpr3
.LBB3_120:
	s_or_saveexec_b32 s12, s12
	v_mov_b32_e32 v33, 0x7c01
	s_xor_b32 exec_lo, exec_lo, s12
; %bb.121:
	v_cmp_ne_u16_e32 vcc_lo, 0, v3
	v_mov_b32_e32 v33, 0
	s_and_not1_b32 s4, s4, exec_lo
	s_and_b32 s13, vcc_lo, exec_lo
	s_delay_alu instid0(SALU_CYCLE_1)
	s_or_b32 s4, s4, s13
; %bb.122:
	s_or_b32 exec_lo, exec_lo, s12
	v_lshrrev_b64 v[3:4], 24, v[1:2]
	v_lshrrev_b32_e32 v4, 24, v2
	v_lshrrev_b32_e32 v35, 16, v2
	;; [unrolled: 1-line block ×4, first 2 shown]
	s_and_saveexec_b32 s12, s4
	s_cbranch_execz .LBB3_124
; %bb.123:
	v_and_b32_e32 v1, 7, v37
	v_lshrrev_b16 v38, 3, v37
	v_lshrrev_b16 v37, 7, v37
	s_delay_alu instid0(VALU_DEP_3) | instskip(NEXT) | instid1(VALU_DEP_2)
	v_clz_i32_u32_e32 v33, v1
	v_and_b32_e32 v37, 1, v37
	s_delay_alu instid0(VALU_DEP_2) | instskip(NEXT) | instid1(VALU_DEP_2)
	v_min_u32_e32 v33, 32, v33
	v_lshlrev_b32_e32 v37, 15, v37
	s_delay_alu instid0(VALU_DEP_2) | instskip(SKIP_1) | instid1(VALU_DEP_2)
	v_subrev_nc_u32_e32 v39, 28, v33
	v_sub_nc_u32_e32 v33, 29, v33
	v_lshlrev_b32_e32 v39, v39, v1
	s_delay_alu instid0(VALU_DEP_1) | instskip(SKIP_1) | instid1(VALU_DEP_1)
	v_and_b32_e32 v39, 7, v39
	v_and_b32_e32 v38, 15, v38
	v_cmp_eq_u16_e32 vcc_lo, 0, v38
	s_wait_alu 0xfffd
	s_delay_alu instid0(VALU_DEP_3) | instskip(NEXT) | instid1(VALU_DEP_1)
	v_dual_cndmask_b32 v1, v1, v39 :: v_dual_and_b32 v40, 0xffff, v38
	v_lshlrev_b32_e32 v1, 7, v1
	s_delay_alu instid0(VALU_DEP_2) | instskip(NEXT) | instid1(VALU_DEP_1)
	v_cndmask_b32_e32 v33, v40, v33, vcc_lo
	v_lshl_add_u32 v33, v33, 10, 0x1c00
	s_delay_alu instid0(VALU_DEP_1)
	v_or3_b32 v33, v37, v33, v1
.LBB3_124:
	s_or_b32 exec_lo, exec_lo, s12
	s_delay_alu instid0(VALU_DEP_1) | instskip(SKIP_2) | instid1(VALU_DEP_1)
	v_and_b32_e32 v37, 0xff, v34
	s_mov_b32 s4, 0
	s_mov_b32 s12, exec_lo
	v_cmpx_lt_i16_e32 0x7f, v37
	s_xor_b32 s12, exec_lo, s12
	s_cbranch_execnz .LBB3_491
; %bb.125:
	s_or_saveexec_b32 s12, s12
	v_mov_b32_e32 v1, 0x7c01
	s_xor_b32 exec_lo, exec_lo, s12
	s_cbranch_execnz .LBB3_494
.LBB3_126:
	s_or_b32 exec_lo, exec_lo, s12
	s_and_saveexec_b32 s12, s4
	s_cbranch_execz .LBB3_128
.LBB3_127:
	v_and_b32_e32 v1, 7, v34
	v_lshrrev_b16 v38, 3, v34
	v_lshrrev_b16 v34, 7, v34
	s_delay_alu instid0(VALU_DEP_3) | instskip(NEXT) | instid1(VALU_DEP_1)
	v_clz_i32_u32_e32 v37, v1
	v_min_u32_e32 v37, 32, v37
	s_delay_alu instid0(VALU_DEP_1) | instskip(SKIP_1) | instid1(VALU_DEP_2)
	v_subrev_nc_u32_e32 v39, 28, v37
	v_sub_nc_u32_e32 v37, 29, v37
	v_lshlrev_b32_e32 v39, v39, v1
	s_delay_alu instid0(VALU_DEP_1) | instskip(SKIP_1) | instid1(VALU_DEP_1)
	v_and_b32_e32 v39, 7, v39
	v_and_b32_e32 v38, 15, v38
	v_cmp_eq_u16_e32 vcc_lo, 0, v38
	s_wait_alu 0xfffd
	s_delay_alu instid0(VALU_DEP_3) | instskip(SKIP_1) | instid1(VALU_DEP_2)
	v_dual_cndmask_b32 v1, v1, v39 :: v_dual_and_b32 v40, 0xffff, v38
	v_and_b32_e32 v34, 1, v34
	v_lshlrev_b32_e32 v1, 7, v1
	s_delay_alu instid0(VALU_DEP_2) | instskip(NEXT) | instid1(VALU_DEP_1)
	v_dual_cndmask_b32 v37, v40, v37 :: v_dual_lshlrev_b32 v34, 15, v34
	v_lshl_add_u32 v37, v37, 10, 0x1c00
	s_delay_alu instid0(VALU_DEP_1)
	v_or3_b32 v1, v34, v37, v1
.LBB3_128:
	s_or_b32 exec_lo, exec_lo, s12
	v_and_b32_e32 v37, 0xff, v3
	s_mov_b32 s4, 0
	s_mov_b32 s12, exec_lo
	s_delay_alu instid0(VALU_DEP_1)
	v_cmpx_lt_i16_e32 0x7f, v37
	s_xor_b32 s12, exec_lo, s12
	s_cbranch_execnz .LBB3_495
; %bb.129:
	s_or_saveexec_b32 s12, s12
	v_mov_b32_e32 v34, 0x7c01
	s_xor_b32 exec_lo, exec_lo, s12
	s_cbranch_execnz .LBB3_498
.LBB3_130:
	s_or_b32 exec_lo, exec_lo, s12
	s_and_saveexec_b32 s12, s4
	s_cbranch_execz .LBB3_132
.LBB3_131:
	v_lshrrev_b16 v38, 3, v3
	s_delay_alu instid0(VALU_DEP_1) | instskip(NEXT) | instid1(VALU_DEP_1)
	v_and_b32_e32 v38, 15, v38
	v_and_b32_e32 v40, 0xffff, v38
	v_cmp_eq_u16_e32 vcc_lo, 0, v38
	v_and_b32_e32 v34, 7, v3
	v_lshrrev_b16 v3, 7, v3
	s_delay_alu instid0(VALU_DEP_2) | instskip(NEXT) | instid1(VALU_DEP_2)
	v_clz_i32_u32_e32 v37, v34
	v_and_b32_e32 v3, 1, v3
	s_delay_alu instid0(VALU_DEP_2) | instskip(NEXT) | instid1(VALU_DEP_2)
	v_min_u32_e32 v37, 32, v37
	v_lshlrev_b32_e32 v3, 15, v3
	s_delay_alu instid0(VALU_DEP_2) | instskip(SKIP_2) | instid1(VALU_DEP_1)
	v_subrev_nc_u32_e32 v39, 28, v37
	v_sub_nc_u32_e32 v37, 29, v37
	s_wait_alu 0xfffd
	v_cndmask_b32_e32 v37, v40, v37, vcc_lo
	s_delay_alu instid0(VALU_DEP_3) | instskip(NEXT) | instid1(VALU_DEP_2)
	v_lshlrev_b32_e32 v39, v39, v34
	v_lshl_add_u32 v37, v37, 10, 0x1c00
	s_delay_alu instid0(VALU_DEP_2) | instskip(NEXT) | instid1(VALU_DEP_1)
	v_and_b32_e32 v39, 7, v39
	v_cndmask_b32_e32 v34, v34, v39, vcc_lo
	s_delay_alu instid0(VALU_DEP_1) | instskip(NEXT) | instid1(VALU_DEP_1)
	v_lshlrev_b32_e32 v34, 7, v34
	v_or3_b32 v34, v3, v37, v34
.LBB3_132:
	s_or_b32 exec_lo, exec_lo, s12
	v_and_b32_e32 v37, 0xff, v2
	s_mov_b32 s4, 0
	s_mov_b32 s12, exec_lo
	s_delay_alu instid0(VALU_DEP_1)
	v_cmpx_lt_i16_e32 0x7f, v37
	s_xor_b32 s12, exec_lo, s12
	s_cbranch_execnz .LBB3_499
; %bb.133:
	s_or_saveexec_b32 s12, s12
	v_mov_b32_e32 v3, 0x7c01
	s_xor_b32 exec_lo, exec_lo, s12
	s_cbranch_execnz .LBB3_502
.LBB3_134:
	s_or_b32 exec_lo, exec_lo, s12
	s_and_saveexec_b32 s12, s4
	s_cbranch_execz .LBB3_136
.LBB3_135:
	v_and_b32_e32 v3, 7, v2
	v_lshrrev_b16 v38, 3, v2
	s_delay_alu instid0(VALU_DEP_2) | instskip(NEXT) | instid1(VALU_DEP_1)
	v_clz_i32_u32_e32 v37, v3
	v_min_u32_e32 v37, 32, v37
	s_delay_alu instid0(VALU_DEP_1) | instskip(SKIP_1) | instid1(VALU_DEP_2)
	v_subrev_nc_u32_e32 v39, 28, v37
	v_sub_nc_u32_e32 v37, 29, v37
	v_lshlrev_b32_e32 v39, v39, v2
	s_delay_alu instid0(VALU_DEP_1) | instskip(SKIP_1) | instid1(VALU_DEP_1)
	v_and_b32_e32 v39, 7, v39
	v_and_b32_e32 v38, 15, v38
	v_cmp_eq_u16_e32 vcc_lo, 0, v38
	s_wait_alu 0xfffd
	s_delay_alu instid0(VALU_DEP_3) | instskip(SKIP_1) | instid1(VALU_DEP_2)
	v_dual_cndmask_b32 v3, v3, v39 :: v_dual_and_b32 v40, 0xffff, v38
	v_lshlrev_b32_e32 v2, 8, v2
	v_lshlrev_b32_e32 v3, 7, v3
	s_delay_alu instid0(VALU_DEP_2) | instskip(NEXT) | instid1(VALU_DEP_1)
	v_dual_cndmask_b32 v37, v40, v37 :: v_dual_and_b32 v2, 0x8000, v2
	v_lshl_add_u32 v37, v37, 10, 0x1c00
	s_delay_alu instid0(VALU_DEP_1)
	v_or3_b32 v3, v2, v37, v3
.LBB3_136:
	s_or_b32 exec_lo, exec_lo, s12
	v_and_b32_e32 v37, 0xff, v36
	s_mov_b32 s4, 0
	s_mov_b32 s12, exec_lo
	s_delay_alu instid0(VALU_DEP_1)
	v_cmpx_lt_i16_e32 0x7f, v37
	s_xor_b32 s12, exec_lo, s12
	s_cbranch_execnz .LBB3_503
; %bb.137:
	s_or_saveexec_b32 s12, s12
	v_mov_b32_e32 v2, 0x7c01
	s_xor_b32 exec_lo, exec_lo, s12
	s_cbranch_execnz .LBB3_506
.LBB3_138:
	s_or_b32 exec_lo, exec_lo, s12
	s_and_saveexec_b32 s12, s4
	s_cbranch_execz .LBB3_140
.LBB3_139:
	v_lshrrev_b16 v38, 3, v36
	s_delay_alu instid0(VALU_DEP_1) | instskip(NEXT) | instid1(VALU_DEP_1)
	v_and_b32_e32 v38, 15, v38
	v_and_b32_e32 v40, 0xffff, v38
	v_cmp_eq_u16_e32 vcc_lo, 0, v38
	v_and_b32_e32 v2, 7, v36
	v_lshrrev_b16 v36, 7, v36
	s_delay_alu instid0(VALU_DEP_2) | instskip(NEXT) | instid1(VALU_DEP_2)
	v_clz_i32_u32_e32 v37, v2
	v_and_b32_e32 v36, 1, v36
	s_delay_alu instid0(VALU_DEP_2) | instskip(NEXT) | instid1(VALU_DEP_2)
	v_min_u32_e32 v37, 32, v37
	v_lshlrev_b32_e32 v36, 15, v36
	s_delay_alu instid0(VALU_DEP_2) | instskip(SKIP_2) | instid1(VALU_DEP_1)
	v_subrev_nc_u32_e32 v39, 28, v37
	v_sub_nc_u32_e32 v37, 29, v37
	s_wait_alu 0xfffd
	v_cndmask_b32_e32 v37, v40, v37, vcc_lo
	s_delay_alu instid0(VALU_DEP_3) | instskip(NEXT) | instid1(VALU_DEP_2)
	v_lshlrev_b32_e32 v39, v39, v2
	v_lshl_add_u32 v37, v37, 10, 0x1c00
	s_delay_alu instid0(VALU_DEP_2) | instskip(NEXT) | instid1(VALU_DEP_1)
	v_and_b32_e32 v39, 7, v39
	v_cndmask_b32_e32 v2, v2, v39, vcc_lo
	s_delay_alu instid0(VALU_DEP_1) | instskip(NEXT) | instid1(VALU_DEP_1)
	v_lshlrev_b32_e32 v2, 7, v2
	v_or3_b32 v2, v36, v37, v2
.LBB3_140:
	s_or_b32 exec_lo, exec_lo, s12
	v_and_b32_e32 v37, 0xff, v35
	s_mov_b32 s4, 0
	s_mov_b32 s12, exec_lo
	s_delay_alu instid0(VALU_DEP_1)
	v_cmpx_lt_i16_e32 0x7f, v37
	s_xor_b32 s12, exec_lo, s12
	s_cbranch_execnz .LBB3_507
; %bb.141:
	s_or_saveexec_b32 s12, s12
	v_mov_b32_e32 v36, 0x7c01
	s_xor_b32 exec_lo, exec_lo, s12
	s_cbranch_execnz .LBB3_510
.LBB3_142:
	s_or_b32 exec_lo, exec_lo, s12
	s_and_saveexec_b32 s12, s4
	s_cbranch_execz .LBB3_144
.LBB3_143:
	v_lshrrev_b16 v38, 3, v35
	s_delay_alu instid0(VALU_DEP_1) | instskip(NEXT) | instid1(VALU_DEP_1)
	v_and_b32_e32 v38, 15, v38
	v_and_b32_e32 v40, 0xffff, v38
	v_cmp_eq_u16_e32 vcc_lo, 0, v38
	v_and_b32_e32 v36, 7, v35
	v_lshrrev_b16 v35, 7, v35
	s_delay_alu instid0(VALU_DEP_2) | instskip(NEXT) | instid1(VALU_DEP_2)
	v_clz_i32_u32_e32 v37, v36
	v_and_b32_e32 v35, 1, v35
	s_delay_alu instid0(VALU_DEP_2) | instskip(NEXT) | instid1(VALU_DEP_2)
	v_min_u32_e32 v37, 32, v37
	v_lshlrev_b32_e32 v35, 15, v35
	s_delay_alu instid0(VALU_DEP_2) | instskip(SKIP_2) | instid1(VALU_DEP_1)
	v_subrev_nc_u32_e32 v39, 28, v37
	v_sub_nc_u32_e32 v37, 29, v37
	s_wait_alu 0xfffd
	v_cndmask_b32_e32 v37, v40, v37, vcc_lo
	s_delay_alu instid0(VALU_DEP_3) | instskip(NEXT) | instid1(VALU_DEP_2)
	v_lshlrev_b32_e32 v39, v39, v36
	v_lshl_add_u32 v37, v37, 10, 0x1c00
	s_delay_alu instid0(VALU_DEP_2) | instskip(NEXT) | instid1(VALU_DEP_1)
	v_and_b32_e32 v39, 7, v39
	v_cndmask_b32_e32 v36, v36, v39, vcc_lo
	s_delay_alu instid0(VALU_DEP_1) | instskip(NEXT) | instid1(VALU_DEP_1)
	v_lshlrev_b32_e32 v36, 7, v36
	v_or3_b32 v36, v35, v37, v36
.LBB3_144:
	s_or_b32 exec_lo, exec_lo, s12
	s_mov_b32 s12, 0
	s_mov_b32 s4, exec_lo
	v_cmpx_lt_i16_e32 0x7f, v4
	s_xor_b32 s4, exec_lo, s4
	s_cbranch_execnz .LBB3_511
; %bb.145:
	s_or_saveexec_b32 s4, s4
	v_mov_b32_e32 v35, 0x7c01
	s_xor_b32 exec_lo, exec_lo, s4
	s_cbranch_execnz .LBB3_514
.LBB3_146:
	s_or_b32 exec_lo, exec_lo, s4
	s_and_saveexec_b32 s4, s12
	s_cbranch_execz .LBB3_148
.LBB3_147:
	v_and_b32_e32 v35, 7, v4
	v_lshrrev_b16 v38, 3, v4
	v_lshrrev_b16 v4, 7, v4
	s_delay_alu instid0(VALU_DEP_3) | instskip(NEXT) | instid1(VALU_DEP_2)
	v_clz_i32_u32_e32 v37, v35
	v_lshlrev_b32_e32 v4, 15, v4
	s_delay_alu instid0(VALU_DEP_2) | instskip(NEXT) | instid1(VALU_DEP_1)
	v_min_u32_e32 v37, 32, v37
	v_subrev_nc_u32_e32 v39, 28, v37
	v_sub_nc_u32_e32 v37, 29, v37
	s_delay_alu instid0(VALU_DEP_2) | instskip(NEXT) | instid1(VALU_DEP_1)
	v_lshlrev_b32_e32 v39, v39, v35
	v_and_b32_e32 v39, 7, v39
	v_and_b32_e32 v38, 15, v38
	s_delay_alu instid0(VALU_DEP_1) | instskip(SKIP_1) | instid1(VALU_DEP_3)
	v_cmp_eq_u16_e32 vcc_lo, 0, v38
	s_wait_alu 0xfffd
	v_dual_cndmask_b32 v35, v35, v39 :: v_dual_and_b32 v40, 0xffff, v38
	s_delay_alu instid0(VALU_DEP_1) | instskip(NEXT) | instid1(VALU_DEP_2)
	v_lshlrev_b32_e32 v35, 7, v35
	v_cndmask_b32_e32 v37, v40, v37, vcc_lo
	s_delay_alu instid0(VALU_DEP_1) | instskip(NEXT) | instid1(VALU_DEP_1)
	v_lshl_add_u32 v37, v37, 10, 0x1c00
	v_or3_b32 v35, v4, v37, v35
.LBB3_148:
	s_or_b32 exec_lo, exec_lo, s4
	v_lshrrev_b32_e32 v144, 1, v0
	v_and_b32_e32 v145, 15, v0
	v_lshrrev_b32_e32 v152, 3, v0
	v_and_b32_e32 v143, 0x80, v0
	v_perm_b32 v169, v2, v3, 0x5040100
	v_perm_b32 v168, v34, v1, 0x5040100
	v_mul_u32_u24_e32 v1, 0x1010, v131
	v_dual_mov_b32 v0, 0 :: v_dual_lshlrev_b32 v153, 3, v0
	v_and_b32_e32 v132, 0x7e, v144
	v_lshlrev_b32_e32 v2, 4, v7
	s_mov_b32 s13, 0
	s_mov_b32 s12, s24
	v_mov_b32_e32 v7, v0
	s_add_co_i32 s17, s5, 0x7fffffff
	v_add_nc_u32_e32 v137, v1, v2
	v_mov_b32_e32 v1, v0
	v_lshl_or_b32 v4, s26, 7, v132
	s_mov_b32 s16, s13
	v_add_nc_u32_e32 v3, 3, v5
	s_mul_u64 s[12:13], s[16:17], s[12:13]
	v_add3_u32 v135, v6, s7, 32
	v_mul_lo_u32 v133, v4, s24
	s_add_co_i32 s4, s6, s13
	v_add_nc_u32_e32 v136, 32, v6
	v_mov_b32_e32 v6, v0
	v_mad_co_u64_u32 v[128:129], null, s7, v3, 32
	v_mov_b32_e32 v3, v0
	s_mov_b32 s19, 0x31004000
	v_add_nc_u32_e32 v4, v133, v134
	s_lshl_b32 s18, s4, 1
	s_and_b32 s21, s11, 0xffff
	s_mov_b32 s20, s10
	s_mov_b32 s23, s19
	v_lshlrev_b32_e32 v142, 1, v4
	v_add_lshl_u32 v4, v4, s24, 1
	s_mov_b32 s22, s18
	s_clause 0x1
	buffer_load_b128 v[146:149], v142, s[20:23], null offen
	buffer_load_b128 v[155:158], v4, s[20:23], null offen
	v_add_nc_u32_e32 v4, 2, v5
	v_perm_b32 v141, v15, v14, 0x5040100
	v_perm_b32 v140, v13, v12, 0x5040100
	;; [unrolled: 1-line block ×4, first 2 shown]
	v_dual_mov_b32 v8, v0 :: v_dual_and_b32 v151, 2, v152
	v_mad_u32_u24 v171, 0x1010, v131, v2
	v_dual_mov_b32 v13, v0 :: v_dual_lshlrev_b32 v154, 4, v145
	v_perm_b32 v162, v23, v22, 0x5040100
	v_perm_b32 v161, v21, v20, 0x5040100
	v_perm_b32 v160, v19, v18, 0x5040100
	v_perm_b32 v159, v17, v16, 0x5040100
	s_ashr_i32 s4, s28, 31
	v_mov_b32_e32 v9, v0
	v_mad_co_u64_u32 v[129:130], null, s7, v4, 32
	v_mul_u32_u24_e32 v150, 0x810, v131
	s_lshr_b32 s4, s4, 30
	v_mov_b32_e32 v2, v0
	v_mov_b32_e32 v4, v0
	ds_store_b128 v171, v[138:141]
	ds_store_b128 v171, v[159:162] offset:16
	v_lshlrev_b32_e32 v130, 4, v132
	v_lshl_or_b32 v132, v143, 1, v154
	v_mul_u32_u24_e32 v138, 0x1010, v151
	v_and_or_b32 v140, 0x300, v153, v154
	v_mul_u32_u24_e32 v141, 0x810, v151
	v_add3_u32 v133, v133, s24, v134
	s_add_co_i32 s28, s28, s4
	v_perm_b32 v166, v31, v30, 0x5040100
	s_ashr_i32 s4, s28, 2
	v_perm_b32 v165, v29, v28, 0x5040100
	v_perm_b32 v164, v27, v26, 0x5040100
	;; [unrolled: 1-line block ×5, first 2 shown]
	v_dual_mov_b32 v5, v0 :: v_dual_mov_b32 v10, v0
	v_dual_mov_b32 v11, v0 :: v_dual_mov_b32 v12, v0
	;; [unrolled: 1-line block ×59, first 2 shown]
	v_add_nc_u32_e32 v139, v130, v150
	v_mad_u32_u24 v131, 0x810, v131, v130
	v_add_nc_u32_e32 v154, v132, v138
	v_add_nc_u32_e32 v138, v140, v141
	v_lshl_add_u32 v140, v133, 1, 64
	v_add_nc_u32_e32 v141, 64, v142
	s_max_i32 s4, s4, 2
	s_mov_b32 s16, s10
	s_mov_b32 s12, s8
	;; [unrolled: 1-line block ×4, first 2 shown]
	s_add_co_i32 s4, s4, -1
	ds_store_b128 v171, v[163:166] offset:32
	ds_store_b128 v171, v[167:170] offset:48
	s_wait_loadcnt 0x1
	ds_store_b128 v131, v[146:149] offset:16432
	s_wait_loadcnt 0x0
	ds_store_b128 v131, v[155:158] offset:16448
	s_branch .LBB3_150
.LBB3_149:                              ;   in Loop: Header=BB3_150 Depth=1
	s_wait_alu 0xfffe
	s_or_b32 exec_lo, exec_lo, s6
	s_wait_dscnt 0x0
	s_barrier_signal -1
	s_barrier_wait -1
	ds_load_b128 v[176:179], v154
	ds_load_b128 v[180:183], v138 offset:16432
	ds_load_b128 v[184:187], v138 offset:17456
	;; [unrolled: 1-line block ×3, first 2 shown]
	v_perm_b32 v150, v155, v150, 0x5040100
	v_perm_b32 v149, v149, v148, 0x5040100
	v_perm_b32 v148, v147, v146, 0x5040100
	v_perm_b32 v147, v143, v142, 0x5040100
	v_perm_b32 v146, v163, v161, 0x5040100
	v_add_nc_u32_e32 v128, 32, v128
	v_add_nc_u32_e32 v129, 32, v129
	v_add_nc_u32_e32 v135, 32, v135
	v_add_nc_u32_e32 v136, 32, v136
	s_add_co_i32 s4, s4, -1
	s_delay_alu instid0(SALU_CYCLE_1)
	s_cmp_lg_u32 s4, 0
	s_wait_dscnt 0x2
	v_wmma_f32_16x16x16_f16 v[120:127], v[176:179], v[180:183], v[120:127]
	s_wait_dscnt 0x1
	v_wmma_f32_16x16x16_f16 v[112:119], v[176:179], v[184:187], v[112:119]
	ds_load_b128 v[176:179], v154 offset:1024
	s_wait_dscnt 0x1
	v_wmma_f32_16x16x16_f16 v[96:103], v[188:191], v[180:183], v[96:103]
	v_wmma_f32_16x16x16_f16 v[104:111], v[188:191], v[184:187], v[104:111]
	ds_load_b128 v[188:191], v154 offset:1536
	s_wait_dscnt 0x1
	v_wmma_f32_16x16x16_f16 v[88:95], v[176:179], v[180:183], v[88:95]
	;; [unrolled: 4-line block ×5, first 2 shown]
	v_wmma_f32_16x16x16_f16 v[40:47], v[188:191], v[184:187], v[40:47]
	ds_load_b128 v[188:191], v154 offset:3584
	s_clause 0x1
	buffer_load_b128 v[192:195], v141, s[16:19], null offen
	buffer_load_b128 v[196:199], v140, s[16:19], null offen
	v_add_nc_u32_e32 v140, 64, v140
	v_add_nc_u32_e32 v141, 64, v141
	s_wait_dscnt 0x1
	v_wmma_f32_16x16x16_f16 v[24:31], v[176:179], v[180:183], v[24:31]
	v_wmma_f32_16x16x16_f16 v[16:23], v[176:179], v[184:187], v[16:23]
	v_perm_b32 v177, v158, v157, 0x5040100
	s_wait_dscnt 0x0
	v_wmma_f32_16x16x16_f16 v[8:15], v[188:191], v[180:183], v[8:15]
	ds_load_b128 v[180:183], v154 offset:4112
	v_wmma_f32_16x16x16_f16 v[0:7], v[188:191], v[184:187], v[0:7]
	ds_load_b128 v[184:187], v138 offset:18496
	ds_load_b128 v[188:191], v138 offset:19520
	v_perm_b32 v176, v156, v151, 0x5040100
	ds_load_b128 v[155:158], v154 offset:4624
	ds_load_b128 v[200:203], v154 offset:5136
	;; [unrolled: 1-line block ×7, first 2 shown]
	v_perm_b32 v179, v164, v162, 0x5040100
	v_perm_b32 v178, v160, v159, 0x5040100
	s_wait_dscnt 0x0
	s_barrier_signal -1
	s_barrier_wait -1
	ds_store_b128 v137, v[147:150]
	ds_store_b128 v137, v[176:179] offset:16
	v_perm_b32 v149, v170, v169, 0x5040100
	v_perm_b32 v148, v168, v167, 0x5040100
	;; [unrolled: 1-line block ×3, first 2 shown]
	v_wmma_f32_16x16x16_f16 v[120:127], v[180:183], v[184:187], v[120:127]
	v_wmma_f32_16x16x16_f16 v[112:119], v[180:183], v[188:191], v[112:119]
	;; [unrolled: 1-line block ×16, first 2 shown]
	v_perm_b32 v158, v175, v174, 0x5040100
	v_perm_b32 v157, v131, v132, 0x5040100
	;; [unrolled: 1-line block ×4, first 2 shown]
	ds_store_b128 v137, v[146:149] offset:32
	ds_store_b128 v137, v[155:158] offset:48
	s_wait_loadcnt 0x1
	ds_store_b128 v139, v[192:195] offset:16432
	s_wait_loadcnt 0x0
	ds_store_b128 v139, v[196:199] offset:16448
	s_cbranch_scc0 .LBB3_406
.LBB3_150:                              ; =>This Inner Loop Header: Depth=1
	v_add_nc_u32_e32 v130, v134, v136
	s_mov_b32 s6, 0
	s_mov_b32 s7, exec_lo
	buffer_load_b64 v[130:131], v130, s[12:15], null offen
	s_wait_loadcnt 0x0
	v_and_b32_e32 v132, 0xff, v130
	s_delay_alu instid0(VALU_DEP_1)
	v_cmpx_lt_i16_e64 0x7f, v132
	s_xor_b32 s7, exec_lo, s7
	s_cbranch_execnz .LBB3_277
; %bb.151:                              ;   in Loop: Header=BB3_150 Depth=1
	s_wait_alu 0xfffe
	s_or_saveexec_b32 s7, s7
	v_mov_b32_e32 v142, 0x7c01
	s_wait_alu 0xfffe
	s_xor_b32 exec_lo, exec_lo, s7
	s_cbranch_execnz .LBB3_280
.LBB3_152:                              ;   in Loop: Header=BB3_150 Depth=1
	s_or_b32 exec_lo, exec_lo, s7
	s_and_saveexec_b32 s7, s6
	s_cbranch_execz .LBB3_154
.LBB3_153:                              ;   in Loop: Header=BB3_150 Depth=1
	v_lshrrev_b16 v142, 3, v130
	s_delay_alu instid0(VALU_DEP_1) | instskip(NEXT) | instid1(VALU_DEP_1)
	v_and_b32_e32 v142, 15, v142
	v_and_b32_e32 v146, 0xffff, v142
	v_cmp_eq_u16_e64 vcc_lo, 0, v142
	v_and_b32_e32 v132, 7, v130
	v_lshlrev_b32_e32 v142, 8, v130
	s_delay_alu instid0(VALU_DEP_2) | instskip(NEXT) | instid1(VALU_DEP_2)
	v_clz_i32_u32_e32 v133, v132
	v_and_b32_e32 v142, 0x8000, v142
	s_delay_alu instid0(VALU_DEP_2) | instskip(NEXT) | instid1(VALU_DEP_1)
	v_min_u32_e32 v133, 32, v133
	v_subrev_nc_u32_e32 v143, 28, v133
	v_sub_nc_u32_e32 v133, 29, v133
	s_delay_alu instid0(VALU_DEP_2) | instskip(SKIP_1) | instid1(VALU_DEP_2)
	v_lshlrev_b32_e32 v143, v143, v130
	s_wait_alu 0xfffd
	v_cndmask_b32_e32 v133, v146, v133, vcc_lo
	s_delay_alu instid0(VALU_DEP_2) | instskip(NEXT) | instid1(VALU_DEP_2)
	v_and_b32_e32 v143, 7, v143
	v_lshl_add_u32 v133, v133, 10, 0x1c00
	s_delay_alu instid0(VALU_DEP_2) | instskip(NEXT) | instid1(VALU_DEP_1)
	v_cndmask_b32_e32 v132, v132, v143, vcc_lo
	v_lshlrev_b32_e32 v132, 7, v132
	s_delay_alu instid0(VALU_DEP_1)
	v_or3_b32 v142, v142, v133, v132
.LBB3_154:                              ;   in Loop: Header=BB3_150 Depth=1
	s_wait_alu 0xfffe
	s_or_b32 exec_lo, exec_lo, s7
	v_lshrrev_b32_e32 v132, 8, v130
	s_mov_b32 s6, 0
	s_mov_b32 s7, exec_lo
	s_delay_alu instid0(VALU_DEP_1) | instskip(NEXT) | instid1(VALU_DEP_1)
	v_and_b32_e32 v133, 0xff, v132
	v_cmpx_lt_i16_e64 0x7f, v133
	s_wait_alu 0xfffe
	s_xor_b32 s7, exec_lo, s7
	s_cbranch_execnz .LBB3_281
; %bb.155:                              ;   in Loop: Header=BB3_150 Depth=1
	s_wait_alu 0xfffe
	s_or_saveexec_b32 s7, s7
	v_mov_b32_e32 v143, 0x7c01
	s_wait_alu 0xfffe
	s_xor_b32 exec_lo, exec_lo, s7
	s_cbranch_execnz .LBB3_284
.LBB3_156:                              ;   in Loop: Header=BB3_150 Depth=1
	s_or_b32 exec_lo, exec_lo, s7
	s_and_saveexec_b32 s7, s6
	s_cbranch_execz .LBB3_158
.LBB3_157:                              ;   in Loop: Header=BB3_150 Depth=1
	v_and_b32_e32 v133, 7, v132
	v_lshrrev_b16 v146, 3, v132
	v_lshrrev_b16 v132, 7, v132
	s_delay_alu instid0(VALU_DEP_3) | instskip(NEXT) | instid1(VALU_DEP_1)
	v_clz_i32_u32_e32 v143, v133
	v_min_u32_e32 v143, 32, v143
	s_delay_alu instid0(VALU_DEP_1) | instskip(SKIP_1) | instid1(VALU_DEP_2)
	v_subrev_nc_u32_e32 v147, 28, v143
	v_sub_nc_u32_e32 v143, 29, v143
	v_lshlrev_b32_e32 v147, v147, v133
	s_delay_alu instid0(VALU_DEP_1) | instskip(SKIP_1) | instid1(VALU_DEP_1)
	v_and_b32_e32 v147, 7, v147
	v_and_b32_e32 v146, 15, v146
	v_cmp_eq_u16_e64 vcc_lo, 0, v146
	s_wait_alu 0xfffd
	s_delay_alu instid0(VALU_DEP_3) | instskip(SKIP_1) | instid1(VALU_DEP_2)
	v_dual_cndmask_b32 v133, v133, v147 :: v_dual_and_b32 v148, 0xffff, v146
	v_and_b32_e32 v132, 1, v132
	v_lshlrev_b32_e32 v133, 7, v133
	s_delay_alu instid0(VALU_DEP_2) | instskip(NEXT) | instid1(VALU_DEP_1)
	v_dual_cndmask_b32 v143, v148, v143 :: v_dual_lshlrev_b32 v132, 15, v132
	v_lshl_add_u32 v143, v143, 10, 0x1c00
	s_delay_alu instid0(VALU_DEP_1)
	v_or3_b32 v143, v132, v143, v133
.LBB3_158:                              ;   in Loop: Header=BB3_150 Depth=1
	s_wait_alu 0xfffe
	s_or_b32 exec_lo, exec_lo, s7
	v_lshrrev_b64 v[132:133], 24, v[130:131]
	v_lshrrev_b32_e32 v130, 16, v130
	v_lshrrev_b32_e32 v133, 24, v131
	;; [unrolled: 1-line block ×4, first 2 shown]
	s_mov_b32 s6, 0
	v_and_b32_e32 v147, 0xff, v130
	s_mov_b32 s7, exec_lo
	s_delay_alu instid0(VALU_DEP_1)
	v_cmpx_lt_i16_e64 0x7f, v147
	s_wait_alu 0xfffe
	s_xor_b32 s7, exec_lo, s7
	s_cbranch_execnz .LBB3_285
; %bb.159:                              ;   in Loop: Header=BB3_150 Depth=1
	s_wait_alu 0xfffe
	s_or_saveexec_b32 s7, s7
	v_mov_b32_e32 v146, 0x7c01
	s_wait_alu 0xfffe
	s_xor_b32 exec_lo, exec_lo, s7
	s_cbranch_execnz .LBB3_288
.LBB3_160:                              ;   in Loop: Header=BB3_150 Depth=1
	s_or_b32 exec_lo, exec_lo, s7
	s_and_saveexec_b32 s7, s6
	s_cbranch_execz .LBB3_162
.LBB3_161:                              ;   in Loop: Header=BB3_150 Depth=1
	v_lshrrev_b16 v148, 3, v130
	s_delay_alu instid0(VALU_DEP_1) | instskip(NEXT) | instid1(VALU_DEP_1)
	v_and_b32_e32 v148, 15, v148
	v_cmp_eq_u16_e64 vcc_lo, 0, v148
	v_and_b32_e32 v155, 0xffff, v148
	v_and_b32_e32 v146, 7, v130
	v_lshrrev_b16 v130, 7, v130
	s_delay_alu instid0(VALU_DEP_2) | instskip(NEXT) | instid1(VALU_DEP_2)
	v_clz_i32_u32_e32 v147, v146
	v_and_b32_e32 v130, 1, v130
	s_delay_alu instid0(VALU_DEP_2) | instskip(NEXT) | instid1(VALU_DEP_2)
	v_min_u32_e32 v147, 32, v147
	v_lshlrev_b32_e32 v130, 15, v130
	s_delay_alu instid0(VALU_DEP_2) | instskip(SKIP_2) | instid1(VALU_DEP_1)
	v_subrev_nc_u32_e32 v149, 28, v147
	v_sub_nc_u32_e32 v147, 29, v147
	s_wait_alu 0xfffd
	v_cndmask_b32_e32 v147, v155, v147, vcc_lo
	s_delay_alu instid0(VALU_DEP_3) | instskip(NEXT) | instid1(VALU_DEP_2)
	v_lshlrev_b32_e32 v149, v149, v146
	v_lshl_add_u32 v147, v147, 10, 0x1c00
	s_delay_alu instid0(VALU_DEP_2) | instskip(NEXT) | instid1(VALU_DEP_1)
	v_and_b32_e32 v149, 7, v149
	v_cndmask_b32_e32 v146, v146, v149, vcc_lo
	s_delay_alu instid0(VALU_DEP_1) | instskip(NEXT) | instid1(VALU_DEP_1)
	v_lshlrev_b32_e32 v146, 7, v146
	v_or3_b32 v146, v130, v147, v146
.LBB3_162:                              ;   in Loop: Header=BB3_150 Depth=1
	s_wait_alu 0xfffe
	s_or_b32 exec_lo, exec_lo, s7
	v_and_b32_e32 v130, 0xff, v132
	s_mov_b32 s6, 0
	s_mov_b32 s7, exec_lo
	s_delay_alu instid0(VALU_DEP_1)
	v_cmpx_lt_i16_e64 0x7f, v130
	s_wait_alu 0xfffe
	s_xor_b32 s7, exec_lo, s7
	s_cbranch_execnz .LBB3_289
; %bb.163:                              ;   in Loop: Header=BB3_150 Depth=1
	s_wait_alu 0xfffe
	s_or_saveexec_b32 s7, s7
	v_mov_b32_e32 v147, 0x7c01
	s_wait_alu 0xfffe
	s_xor_b32 exec_lo, exec_lo, s7
	s_cbranch_execnz .LBB3_292
.LBB3_164:                              ;   in Loop: Header=BB3_150 Depth=1
	s_or_b32 exec_lo, exec_lo, s7
	s_and_saveexec_b32 s7, s6
	s_cbranch_execz .LBB3_166
.LBB3_165:                              ;   in Loop: Header=BB3_150 Depth=1
	v_lshrrev_b16 v148, 3, v132
	s_delay_alu instid0(VALU_DEP_1) | instskip(NEXT) | instid1(VALU_DEP_1)
	v_and_b32_e32 v148, 15, v148
	v_cmp_eq_u16_e64 vcc_lo, 0, v148
	v_and_b32_e32 v155, 0xffff, v148
	v_and_b32_e32 v130, 7, v132
	v_lshrrev_b16 v132, 7, v132
	s_delay_alu instid0(VALU_DEP_2) | instskip(NEXT) | instid1(VALU_DEP_2)
	v_clz_i32_u32_e32 v147, v130
	v_and_b32_e32 v132, 1, v132
	s_delay_alu instid0(VALU_DEP_2) | instskip(NEXT) | instid1(VALU_DEP_2)
	v_min_u32_e32 v147, 32, v147
	v_lshlrev_b32_e32 v132, 15, v132
	s_delay_alu instid0(VALU_DEP_2) | instskip(SKIP_2) | instid1(VALU_DEP_1)
	v_subrev_nc_u32_e32 v149, 28, v147
	v_sub_nc_u32_e32 v147, 29, v147
	s_wait_alu 0xfffd
	v_cndmask_b32_e32 v147, v155, v147, vcc_lo
	s_delay_alu instid0(VALU_DEP_3) | instskip(NEXT) | instid1(VALU_DEP_2)
	v_lshlrev_b32_e32 v149, v149, v130
	v_lshl_add_u32 v147, v147, 10, 0x1c00
	s_delay_alu instid0(VALU_DEP_2) | instskip(NEXT) | instid1(VALU_DEP_1)
	v_and_b32_e32 v149, 7, v149
	v_cndmask_b32_e32 v130, v130, v149, vcc_lo
	s_delay_alu instid0(VALU_DEP_1) | instskip(NEXT) | instid1(VALU_DEP_1)
	v_lshlrev_b32_e32 v130, 7, v130
	v_or3_b32 v147, v132, v147, v130
.LBB3_166:                              ;   in Loop: Header=BB3_150 Depth=1
	s_wait_alu 0xfffe
	s_or_b32 exec_lo, exec_lo, s7
	v_and_b32_e32 v130, 0xff, v131
	s_mov_b32 s6, 0
	s_mov_b32 s7, exec_lo
	s_delay_alu instid0(VALU_DEP_1)
	v_cmpx_lt_i16_e64 0x7f, v130
	s_wait_alu 0xfffe
	s_xor_b32 s7, exec_lo, s7
	s_cbranch_execnz .LBB3_293
; %bb.167:                              ;   in Loop: Header=BB3_150 Depth=1
	s_wait_alu 0xfffe
	s_or_saveexec_b32 s7, s7
	v_mov_b32_e32 v148, 0x7c01
	s_wait_alu 0xfffe
	s_xor_b32 exec_lo, exec_lo, s7
	s_cbranch_execnz .LBB3_296
.LBB3_168:                              ;   in Loop: Header=BB3_150 Depth=1
	s_or_b32 exec_lo, exec_lo, s7
	s_and_saveexec_b32 s7, s6
	s_cbranch_execz .LBB3_170
.LBB3_169:                              ;   in Loop: Header=BB3_150 Depth=1
	v_and_b32_e32 v130, 7, v131
	v_lshrrev_b16 v148, 3, v131
	s_delay_alu instid0(VALU_DEP_2) | instskip(NEXT) | instid1(VALU_DEP_2)
	v_clz_i32_u32_e32 v132, v130
	v_and_b32_e32 v148, 15, v148
	s_delay_alu instid0(VALU_DEP_2) | instskip(NEXT) | instid1(VALU_DEP_2)
	v_min_u32_e32 v132, 32, v132
	v_cmp_eq_u16_e64 vcc_lo, 0, v148
	v_and_b32_e32 v155, 0xffff, v148
	s_delay_alu instid0(VALU_DEP_3) | instskip(SKIP_2) | instid1(VALU_DEP_1)
	v_subrev_nc_u32_e32 v149, 28, v132
	v_sub_nc_u32_e32 v132, 29, v132
	s_wait_alu 0xfffd
	v_dual_cndmask_b32 v132, v155, v132 :: v_dual_lshlrev_b32 v149, v149, v131
	v_lshlrev_b32_e32 v131, 8, v131
	s_delay_alu instid0(VALU_DEP_2) | instskip(NEXT) | instid1(VALU_DEP_3)
	v_and_b32_e32 v149, 7, v149
	v_lshl_add_u32 v132, v132, 10, 0x1c00
	s_delay_alu instid0(VALU_DEP_2) | instskip(NEXT) | instid1(VALU_DEP_1)
	v_dual_cndmask_b32 v130, v130, v149 :: v_dual_and_b32 v131, 0x8000, v131
	v_lshlrev_b32_e32 v130, 7, v130
	s_delay_alu instid0(VALU_DEP_1)
	v_or3_b32 v148, v131, v132, v130
.LBB3_170:                              ;   in Loop: Header=BB3_150 Depth=1
	s_wait_alu 0xfffe
	s_or_b32 exec_lo, exec_lo, s7
	v_and_b32_e32 v130, 0xff, v150
	s_mov_b32 s6, 0
	s_mov_b32 s7, exec_lo
	s_delay_alu instid0(VALU_DEP_1)
	v_cmpx_lt_i16_e64 0x7f, v130
	s_wait_alu 0xfffe
	s_xor_b32 s7, exec_lo, s7
	s_cbranch_execnz .LBB3_297
; %bb.171:                              ;   in Loop: Header=BB3_150 Depth=1
	s_wait_alu 0xfffe
	s_or_saveexec_b32 s7, s7
	v_mov_b32_e32 v149, 0x7c01
	s_wait_alu 0xfffe
	s_xor_b32 exec_lo, exec_lo, s7
	s_cbranch_execnz .LBB3_300
.LBB3_172:                              ;   in Loop: Header=BB3_150 Depth=1
	s_or_b32 exec_lo, exec_lo, s7
	s_and_saveexec_b32 s7, s6
	s_cbranch_execz .LBB3_174
.LBB3_173:                              ;   in Loop: Header=BB3_150 Depth=1
	v_lshrrev_b16 v132, 3, v150
	s_delay_alu instid0(VALU_DEP_1) | instskip(NEXT) | instid1(VALU_DEP_1)
	v_and_b32_e32 v132, 15, v132
	v_cmp_eq_u16_e64 vcc_lo, 0, v132
	v_and_b32_e32 v155, 0xffff, v132
	v_and_b32_e32 v130, 7, v150
	v_lshrrev_b16 v150, 7, v150
	s_delay_alu instid0(VALU_DEP_2) | instskip(NEXT) | instid1(VALU_DEP_2)
	v_clz_i32_u32_e32 v131, v130
	v_and_b32_e32 v132, 1, v150
	s_delay_alu instid0(VALU_DEP_2) | instskip(NEXT) | instid1(VALU_DEP_2)
	v_min_u32_e32 v131, 32, v131
	v_lshlrev_b32_e32 v132, 15, v132
	s_delay_alu instid0(VALU_DEP_2) | instskip(SKIP_2) | instid1(VALU_DEP_1)
	v_subrev_nc_u32_e32 v149, 28, v131
	v_sub_nc_u32_e32 v131, 29, v131
	s_wait_alu 0xfffd
	v_cndmask_b32_e32 v131, v155, v131, vcc_lo
	s_delay_alu instid0(VALU_DEP_3) | instskip(NEXT) | instid1(VALU_DEP_2)
	v_lshlrev_b32_e32 v149, v149, v130
	v_lshl_add_u32 v131, v131, 10, 0x1c00
	s_delay_alu instid0(VALU_DEP_2) | instskip(NEXT) | instid1(VALU_DEP_1)
	v_and_b32_e32 v149, 7, v149
	v_cndmask_b32_e32 v130, v130, v149, vcc_lo
	s_delay_alu instid0(VALU_DEP_1) | instskip(NEXT) | instid1(VALU_DEP_1)
	v_lshlrev_b32_e32 v130, 7, v130
	v_or3_b32 v149, v132, v131, v130
.LBB3_174:                              ;   in Loop: Header=BB3_150 Depth=1
	s_wait_alu 0xfffe
	s_or_b32 exec_lo, exec_lo, s7
	v_and_b32_e32 v130, 0xff, v151
	s_mov_b32 s6, 0
	s_mov_b32 s7, exec_lo
	s_delay_alu instid0(VALU_DEP_1)
	v_cmpx_lt_i16_e64 0x7f, v130
	s_wait_alu 0xfffe
	s_xor_b32 s7, exec_lo, s7
	s_cbranch_execnz .LBB3_301
; %bb.175:                              ;   in Loop: Header=BB3_150 Depth=1
	s_wait_alu 0xfffe
	s_or_saveexec_b32 s7, s7
	v_mov_b32_e32 v150, 0x7c01
	s_wait_alu 0xfffe
	s_xor_b32 exec_lo, exec_lo, s7
	s_cbranch_execnz .LBB3_304
.LBB3_176:                              ;   in Loop: Header=BB3_150 Depth=1
	s_or_b32 exec_lo, exec_lo, s7
	s_and_saveexec_b32 s7, s6
	s_cbranch_execz .LBB3_178
.LBB3_177:                              ;   in Loop: Header=BB3_150 Depth=1
	v_and_b32_e32 v130, 7, v151
	v_lshrrev_b16 v132, 3, v151
	v_lshrrev_b16 v151, 7, v151
	s_delay_alu instid0(VALU_DEP_3) | instskip(NEXT) | instid1(VALU_DEP_1)
	v_clz_i32_u32_e32 v131, v130
	v_min_u32_e32 v131, 32, v131
	s_delay_alu instid0(VALU_DEP_1) | instskip(SKIP_2) | instid1(VALU_DEP_3)
	v_subrev_nc_u32_e32 v150, 28, v131
	v_sub_nc_u32_e32 v131, 29, v131
	v_and_b32_e32 v132, 15, v132
	v_lshlrev_b32_e32 v150, v150, v130
	s_delay_alu instid0(VALU_DEP_2) | instskip(NEXT) | instid1(VALU_DEP_2)
	v_cmp_eq_u16_e64 vcc_lo, 0, v132
	v_and_b32_e32 v150, 7, v150
	v_and_b32_e32 v155, 0xffff, v132
	v_and_b32_e32 v132, 1, v151
	s_wait_alu 0xfffd
	s_delay_alu instid0(VALU_DEP_2) | instskip(NEXT) | instid1(VALU_DEP_2)
	v_dual_cndmask_b32 v130, v130, v150 :: v_dual_cndmask_b32 v131, v155, v131
	v_lshlrev_b32_e32 v132, 15, v132
	s_delay_alu instid0(VALU_DEP_2) | instskip(NEXT) | instid1(VALU_DEP_3)
	v_lshlrev_b32_e32 v130, 7, v130
	v_lshl_add_u32 v131, v131, 10, 0x1c00
	s_delay_alu instid0(VALU_DEP_1)
	v_or3_b32 v150, v132, v131, v130
.LBB3_178:                              ;   in Loop: Header=BB3_150 Depth=1
	s_wait_alu 0xfffe
	s_or_b32 exec_lo, exec_lo, s7
	s_mov_b32 s7, 0
	s_mov_b32 s6, exec_lo
	v_cmpx_lt_i16_e64 0x7f, v133
	s_wait_alu 0xfffe
	s_xor_b32 s6, exec_lo, s6
	s_cbranch_execnz .LBB3_305
; %bb.179:                              ;   in Loop: Header=BB3_150 Depth=1
	s_wait_alu 0xfffe
	s_or_saveexec_b32 s6, s6
	v_mov_b32_e32 v155, 0x7c01
	s_wait_alu 0xfffe
	s_xor_b32 exec_lo, exec_lo, s6
	s_cbranch_execnz .LBB3_308
.LBB3_180:                              ;   in Loop: Header=BB3_150 Depth=1
	s_or_b32 exec_lo, exec_lo, s6
	s_and_saveexec_b32 s6, s7
	s_cbranch_execz .LBB3_182
.LBB3_181:                              ;   in Loop: Header=BB3_150 Depth=1
	v_lshrrev_b16 v132, 3, v133
	s_delay_alu instid0(VALU_DEP_1) | instskip(NEXT) | instid1(VALU_DEP_1)
	v_and_b32_e32 v132, 15, v132
	v_cmp_eq_u16_e64 vcc_lo, 0, v132
	v_and_b32_e32 v155, 0xffff, v132
	v_and_b32_e32 v130, 7, v133
	v_lshrrev_b16 v132, 7, v133
	s_delay_alu instid0(VALU_DEP_2) | instskip(NEXT) | instid1(VALU_DEP_2)
	v_clz_i32_u32_e32 v131, v130
	v_lshlrev_b32_e32 v132, 15, v132
	s_delay_alu instid0(VALU_DEP_2) | instskip(NEXT) | instid1(VALU_DEP_1)
	v_min_u32_e32 v131, 32, v131
	v_subrev_nc_u32_e32 v151, 28, v131
	v_sub_nc_u32_e32 v131, 29, v131
	s_wait_alu 0xfffd
	s_delay_alu instid0(VALU_DEP_1) | instskip(NEXT) | instid1(VALU_DEP_3)
	v_cndmask_b32_e32 v131, v155, v131, vcc_lo
	v_lshlrev_b32_e32 v151, v151, v130
	s_delay_alu instid0(VALU_DEP_2) | instskip(NEXT) | instid1(VALU_DEP_2)
	v_lshl_add_u32 v131, v131, 10, 0x1c00
	v_and_b32_e32 v151, 7, v151
	s_delay_alu instid0(VALU_DEP_1) | instskip(NEXT) | instid1(VALU_DEP_1)
	v_cndmask_b32_e32 v130, v130, v151, vcc_lo
	v_lshlrev_b32_e32 v130, 7, v130
	s_delay_alu instid0(VALU_DEP_1)
	v_or3_b32 v155, v132, v131, v130
.LBB3_182:                              ;   in Loop: Header=BB3_150 Depth=1
	s_wait_alu 0xfffe
	s_or_b32 exec_lo, exec_lo, s6
	v_add_nc_u32_e32 v130, v134, v135
	s_mov_b32 s6, 0
	s_mov_b32 s7, exec_lo
	buffer_load_b64 v[130:131], v130, s[12:15], null offen
	s_wait_loadcnt 0x0
	v_and_b32_e32 v132, 0xff, v130
	s_delay_alu instid0(VALU_DEP_1)
	v_cmpx_lt_i16_e64 0x7f, v132
	s_xor_b32 s7, exec_lo, s7
	s_cbranch_execnz .LBB3_309
; %bb.183:                              ;   in Loop: Header=BB3_150 Depth=1
	s_wait_alu 0xfffe
	s_or_saveexec_b32 s7, s7
	v_mov_b32_e32 v151, 0x7c01
	s_wait_alu 0xfffe
	s_xor_b32 exec_lo, exec_lo, s7
	s_cbranch_execnz .LBB3_312
.LBB3_184:                              ;   in Loop: Header=BB3_150 Depth=1
	s_or_b32 exec_lo, exec_lo, s7
	s_and_saveexec_b32 s7, s6
	s_cbranch_execz .LBB3_186
.LBB3_185:                              ;   in Loop: Header=BB3_150 Depth=1
	v_lshrrev_b16 v151, 3, v130
	s_delay_alu instid0(VALU_DEP_1) | instskip(NEXT) | instid1(VALU_DEP_1)
	v_and_b32_e32 v151, 15, v151
	v_and_b32_e32 v157, 0xffff, v151
	v_cmp_eq_u16_e64 vcc_lo, 0, v151
	v_and_b32_e32 v132, 7, v130
	v_lshlrev_b32_e32 v151, 8, v130
	s_delay_alu instid0(VALU_DEP_2) | instskip(NEXT) | instid1(VALU_DEP_2)
	v_clz_i32_u32_e32 v133, v132
	v_and_b32_e32 v151, 0x8000, v151
	s_delay_alu instid0(VALU_DEP_2) | instskip(NEXT) | instid1(VALU_DEP_1)
	v_min_u32_e32 v133, 32, v133
	v_subrev_nc_u32_e32 v156, 28, v133
	v_sub_nc_u32_e32 v133, 29, v133
	s_wait_alu 0xfffd
	s_delay_alu instid0(VALU_DEP_1) | instskip(NEXT) | instid1(VALU_DEP_1)
	v_dual_cndmask_b32 v133, v157, v133 :: v_dual_lshlrev_b32 v156, v156, v130
	v_and_b32_e32 v156, 7, v156
	s_delay_alu instid0(VALU_DEP_2) | instskip(NEXT) | instid1(VALU_DEP_2)
	v_lshl_add_u32 v133, v133, 10, 0x1c00
	v_cndmask_b32_e32 v132, v132, v156, vcc_lo
	s_delay_alu instid0(VALU_DEP_1) | instskip(NEXT) | instid1(VALU_DEP_1)
	v_lshlrev_b32_e32 v132, 7, v132
	v_or3_b32 v151, v151, v133, v132
.LBB3_186:                              ;   in Loop: Header=BB3_150 Depth=1
	s_wait_alu 0xfffe
	s_or_b32 exec_lo, exec_lo, s7
	v_lshrrev_b32_e32 v132, 8, v130
	s_mov_b32 s6, 0
	s_mov_b32 s7, exec_lo
	s_delay_alu instid0(VALU_DEP_1) | instskip(NEXT) | instid1(VALU_DEP_1)
	v_and_b32_e32 v133, 0xff, v132
	v_cmpx_lt_i16_e64 0x7f, v133
	s_wait_alu 0xfffe
	s_xor_b32 s7, exec_lo, s7
	s_cbranch_execnz .LBB3_313
; %bb.187:                              ;   in Loop: Header=BB3_150 Depth=1
	s_wait_alu 0xfffe
	s_or_saveexec_b32 s7, s7
	v_mov_b32_e32 v156, 0x7c01
	s_wait_alu 0xfffe
	s_xor_b32 exec_lo, exec_lo, s7
	s_cbranch_execnz .LBB3_316
.LBB3_188:                              ;   in Loop: Header=BB3_150 Depth=1
	s_or_b32 exec_lo, exec_lo, s7
	s_and_saveexec_b32 s7, s6
	s_cbranch_execz .LBB3_190
.LBB3_189:                              ;   in Loop: Header=BB3_150 Depth=1
	v_and_b32_e32 v133, 7, v132
	v_lshrrev_b16 v157, 3, v132
	v_lshrrev_b16 v132, 7, v132
	s_delay_alu instid0(VALU_DEP_3) | instskip(NEXT) | instid1(VALU_DEP_1)
	v_clz_i32_u32_e32 v156, v133
	v_min_u32_e32 v156, 32, v156
	s_delay_alu instid0(VALU_DEP_1) | instskip(SKIP_2) | instid1(VALU_DEP_3)
	v_subrev_nc_u32_e32 v158, 28, v156
	v_sub_nc_u32_e32 v156, 29, v156
	v_and_b32_e32 v157, 15, v157
	v_lshlrev_b32_e32 v158, v158, v133
	s_delay_alu instid0(VALU_DEP_2) | instskip(SKIP_1) | instid1(VALU_DEP_3)
	v_and_b32_e32 v159, 0xffff, v157
	v_cmp_eq_u16_e64 vcc_lo, 0, v157
	v_and_b32_e32 v158, 7, v158
	v_and_b32_e32 v132, 1, v132
	s_wait_alu 0xfffd
	s_delay_alu instid0(VALU_DEP_2) | instskip(NEXT) | instid1(VALU_DEP_2)
	v_dual_cndmask_b32 v156, v159, v156 :: v_dual_cndmask_b32 v133, v133, v158
	v_lshlrev_b32_e32 v132, 15, v132
	s_delay_alu instid0(VALU_DEP_2) | instskip(NEXT) | instid1(VALU_DEP_3)
	v_lshl_add_u32 v156, v156, 10, 0x1c00
	v_lshlrev_b32_e32 v133, 7, v133
	s_delay_alu instid0(VALU_DEP_1)
	v_or3_b32 v156, v132, v156, v133
.LBB3_190:                              ;   in Loop: Header=BB3_150 Depth=1
	s_wait_alu 0xfffe
	s_or_b32 exec_lo, exec_lo, s7
	v_lshrrev_b64 v[132:133], 24, v[130:131]
	v_lshrrev_b32_e32 v130, 16, v130
	v_lshrrev_b32_e32 v133, 24, v131
	;; [unrolled: 1-line block ×4, first 2 shown]
	s_mov_b32 s6, 0
	v_and_b32_e32 v158, 0xff, v130
	s_mov_b32 s7, exec_lo
	s_delay_alu instid0(VALU_DEP_1)
	v_cmpx_lt_i16_e64 0x7f, v158
	s_wait_alu 0xfffe
	s_xor_b32 s7, exec_lo, s7
	s_cbranch_execnz .LBB3_317
; %bb.191:                              ;   in Loop: Header=BB3_150 Depth=1
	s_wait_alu 0xfffe
	s_or_saveexec_b32 s7, s7
	v_mov_b32_e32 v157, 0x7c01
	s_wait_alu 0xfffe
	s_xor_b32 exec_lo, exec_lo, s7
	s_cbranch_execnz .LBB3_320
.LBB3_192:                              ;   in Loop: Header=BB3_150 Depth=1
	s_or_b32 exec_lo, exec_lo, s7
	s_and_saveexec_b32 s7, s6
	s_cbranch_execz .LBB3_194
.LBB3_193:                              ;   in Loop: Header=BB3_150 Depth=1
	v_and_b32_e32 v157, 7, v130
	v_lshrrev_b16 v159, 3, v130
	v_lshrrev_b16 v130, 7, v130
	s_delay_alu instid0(VALU_DEP_3) | instskip(NEXT) | instid1(VALU_DEP_1)
	v_clz_i32_u32_e32 v158, v157
	v_min_u32_e32 v158, 32, v158
	s_delay_alu instid0(VALU_DEP_1) | instskip(SKIP_2) | instid1(VALU_DEP_3)
	v_subrev_nc_u32_e32 v160, 28, v158
	v_sub_nc_u32_e32 v158, 29, v158
	v_and_b32_e32 v159, 15, v159
	v_lshlrev_b32_e32 v160, v160, v157
	s_delay_alu instid0(VALU_DEP_2) | instskip(SKIP_1) | instid1(VALU_DEP_3)
	v_and_b32_e32 v163, 0xffff, v159
	v_cmp_eq_u16_e64 vcc_lo, 0, v159
	v_and_b32_e32 v160, 7, v160
	v_and_b32_e32 v130, 1, v130
	s_wait_alu 0xfffd
	s_delay_alu instid0(VALU_DEP_2) | instskip(NEXT) | instid1(VALU_DEP_2)
	v_dual_cndmask_b32 v158, v163, v158 :: v_dual_cndmask_b32 v157, v157, v160
	v_lshlrev_b32_e32 v130, 15, v130
	s_delay_alu instid0(VALU_DEP_2) | instskip(NEXT) | instid1(VALU_DEP_3)
	v_lshl_add_u32 v158, v158, 10, 0x1c00
	v_lshlrev_b32_e32 v157, 7, v157
	s_delay_alu instid0(VALU_DEP_1)
	v_or3_b32 v157, v130, v158, v157
.LBB3_194:                              ;   in Loop: Header=BB3_150 Depth=1
	s_wait_alu 0xfffe
	s_or_b32 exec_lo, exec_lo, s7
	v_and_b32_e32 v130, 0xff, v132
	s_mov_b32 s6, 0
	s_mov_b32 s7, exec_lo
	s_delay_alu instid0(VALU_DEP_1)
	v_cmpx_lt_i16_e64 0x7f, v130
	s_wait_alu 0xfffe
	s_xor_b32 s7, exec_lo, s7
	s_cbranch_execnz .LBB3_321
; %bb.195:                              ;   in Loop: Header=BB3_150 Depth=1
	s_wait_alu 0xfffe
	s_or_saveexec_b32 s7, s7
	v_mov_b32_e32 v158, 0x7c01
	s_wait_alu 0xfffe
	s_xor_b32 exec_lo, exec_lo, s7
	s_cbranch_execnz .LBB3_324
.LBB3_196:                              ;   in Loop: Header=BB3_150 Depth=1
	s_or_b32 exec_lo, exec_lo, s7
	s_and_saveexec_b32 s7, s6
	s_cbranch_execz .LBB3_198
.LBB3_197:                              ;   in Loop: Header=BB3_150 Depth=1
	v_and_b32_e32 v130, 7, v132
	v_lshrrev_b16 v159, 3, v132
	v_lshrrev_b16 v132, 7, v132
	s_delay_alu instid0(VALU_DEP_3) | instskip(NEXT) | instid1(VALU_DEP_2)
	v_clz_i32_u32_e32 v158, v130
	v_and_b32_e32 v132, 1, v132
	s_delay_alu instid0(VALU_DEP_2) | instskip(NEXT) | instid1(VALU_DEP_2)
	v_min_u32_e32 v158, 32, v158
	v_lshlrev_b32_e32 v132, 15, v132
	s_delay_alu instid0(VALU_DEP_2) | instskip(SKIP_1) | instid1(VALU_DEP_2)
	v_subrev_nc_u32_e32 v160, 28, v158
	v_sub_nc_u32_e32 v158, 29, v158
	v_lshlrev_b32_e32 v160, v160, v130
	s_delay_alu instid0(VALU_DEP_1) | instskip(SKIP_1) | instid1(VALU_DEP_1)
	v_and_b32_e32 v160, 7, v160
	v_and_b32_e32 v159, 15, v159
	v_cmp_eq_u16_e64 vcc_lo, 0, v159
	s_wait_alu 0xfffd
	s_delay_alu instid0(VALU_DEP_3) | instskip(NEXT) | instid1(VALU_DEP_1)
	v_dual_cndmask_b32 v130, v130, v160 :: v_dual_and_b32 v163, 0xffff, v159
	v_lshlrev_b32_e32 v130, 7, v130
	s_delay_alu instid0(VALU_DEP_2) | instskip(NEXT) | instid1(VALU_DEP_1)
	v_cndmask_b32_e32 v158, v163, v158, vcc_lo
	v_lshl_add_u32 v158, v158, 10, 0x1c00
	s_delay_alu instid0(VALU_DEP_1)
	v_or3_b32 v158, v132, v158, v130
.LBB3_198:                              ;   in Loop: Header=BB3_150 Depth=1
	s_wait_alu 0xfffe
	s_or_b32 exec_lo, exec_lo, s7
	v_and_b32_e32 v130, 0xff, v131
	s_mov_b32 s6, 0
	s_mov_b32 s7, exec_lo
	s_delay_alu instid0(VALU_DEP_1)
	v_cmpx_lt_i16_e64 0x7f, v130
	s_wait_alu 0xfffe
	s_xor_b32 s7, exec_lo, s7
	s_cbranch_execnz .LBB3_325
; %bb.199:                              ;   in Loop: Header=BB3_150 Depth=1
	s_wait_alu 0xfffe
	s_or_saveexec_b32 s7, s7
	v_mov_b32_e32 v159, 0x7c01
	s_wait_alu 0xfffe
	s_xor_b32 exec_lo, exec_lo, s7
	s_cbranch_execnz .LBB3_328
.LBB3_200:                              ;   in Loop: Header=BB3_150 Depth=1
	s_or_b32 exec_lo, exec_lo, s7
	s_and_saveexec_b32 s7, s6
	s_cbranch_execz .LBB3_202
.LBB3_201:                              ;   in Loop: Header=BB3_150 Depth=1
	v_and_b32_e32 v130, 7, v131
	v_lshrrev_b16 v159, 3, v131
	s_delay_alu instid0(VALU_DEP_2) | instskip(NEXT) | instid1(VALU_DEP_1)
	v_clz_i32_u32_e32 v132, v130
	v_min_u32_e32 v132, 32, v132
	s_delay_alu instid0(VALU_DEP_1) | instskip(SKIP_1) | instid1(VALU_DEP_2)
	v_subrev_nc_u32_e32 v160, 28, v132
	v_sub_nc_u32_e32 v132, 29, v132
	v_lshlrev_b32_e32 v160, v160, v131
	s_delay_alu instid0(VALU_DEP_1) | instskip(SKIP_1) | instid1(VALU_DEP_1)
	v_and_b32_e32 v160, 7, v160
	v_and_b32_e32 v159, 15, v159
	v_cmp_eq_u16_e64 vcc_lo, 0, v159
	s_wait_alu 0xfffd
	s_delay_alu instid0(VALU_DEP_3) | instskip(SKIP_1) | instid1(VALU_DEP_2)
	v_dual_cndmask_b32 v130, v130, v160 :: v_dual_and_b32 v163, 0xffff, v159
	v_lshlrev_b32_e32 v131, 8, v131
	v_lshlrev_b32_e32 v130, 7, v130
	s_delay_alu instid0(VALU_DEP_2) | instskip(NEXT) | instid1(VALU_DEP_1)
	v_dual_cndmask_b32 v132, v163, v132 :: v_dual_and_b32 v131, 0x8000, v131
	v_lshl_add_u32 v132, v132, 10, 0x1c00
	s_delay_alu instid0(VALU_DEP_1)
	v_or3_b32 v159, v131, v132, v130
.LBB3_202:                              ;   in Loop: Header=BB3_150 Depth=1
	s_wait_alu 0xfffe
	s_or_b32 exec_lo, exec_lo, s7
	v_and_b32_e32 v130, 0xff, v162
	s_mov_b32 s6, 0
	s_mov_b32 s7, exec_lo
	s_delay_alu instid0(VALU_DEP_1)
	v_cmpx_lt_i16_e64 0x7f, v130
	s_wait_alu 0xfffe
	s_xor_b32 s7, exec_lo, s7
	s_cbranch_execnz .LBB3_329
; %bb.203:                              ;   in Loop: Header=BB3_150 Depth=1
	s_wait_alu 0xfffe
	s_or_saveexec_b32 s7, s7
	v_mov_b32_e32 v160, 0x7c01
	s_wait_alu 0xfffe
	s_xor_b32 exec_lo, exec_lo, s7
	s_cbranch_execnz .LBB3_332
.LBB3_204:                              ;   in Loop: Header=BB3_150 Depth=1
	s_or_b32 exec_lo, exec_lo, s7
	s_and_saveexec_b32 s7, s6
	s_cbranch_execz .LBB3_206
.LBB3_205:                              ;   in Loop: Header=BB3_150 Depth=1
	v_lshrrev_b16 v132, 3, v162
	s_delay_alu instid0(VALU_DEP_1) | instskip(NEXT) | instid1(VALU_DEP_1)
	v_and_b32_e32 v132, 15, v132
	v_and_b32_e32 v163, 0xffff, v132
	v_cmp_eq_u16_e64 vcc_lo, 0, v132
	v_and_b32_e32 v130, 7, v162
	v_lshrrev_b16 v162, 7, v162
	s_delay_alu instid0(VALU_DEP_2) | instskip(NEXT) | instid1(VALU_DEP_2)
	v_clz_i32_u32_e32 v131, v130
	v_and_b32_e32 v132, 1, v162
	s_delay_alu instid0(VALU_DEP_2) | instskip(NEXT) | instid1(VALU_DEP_2)
	v_min_u32_e32 v131, 32, v131
	v_lshlrev_b32_e32 v132, 15, v132
	s_delay_alu instid0(VALU_DEP_2) | instskip(SKIP_2) | instid1(VALU_DEP_1)
	v_subrev_nc_u32_e32 v160, 28, v131
	v_sub_nc_u32_e32 v131, 29, v131
	s_wait_alu 0xfffd
	v_dual_cndmask_b32 v131, v163, v131 :: v_dual_lshlrev_b32 v160, v160, v130
	s_delay_alu instid0(VALU_DEP_1) | instskip(NEXT) | instid1(VALU_DEP_2)
	v_lshl_add_u32 v131, v131, 10, 0x1c00
	v_and_b32_e32 v160, 7, v160
	s_delay_alu instid0(VALU_DEP_1) | instskip(NEXT) | instid1(VALU_DEP_1)
	v_cndmask_b32_e32 v130, v130, v160, vcc_lo
	v_lshlrev_b32_e32 v130, 7, v130
	s_delay_alu instid0(VALU_DEP_1)
	v_or3_b32 v160, v132, v131, v130
.LBB3_206:                              ;   in Loop: Header=BB3_150 Depth=1
	s_wait_alu 0xfffe
	s_or_b32 exec_lo, exec_lo, s7
	v_and_b32_e32 v130, 0xff, v161
	s_mov_b32 s6, 0
	s_mov_b32 s7, exec_lo
	s_delay_alu instid0(VALU_DEP_1)
	v_cmpx_lt_i16_e64 0x7f, v130
	s_wait_alu 0xfffe
	s_xor_b32 s7, exec_lo, s7
	s_cbranch_execnz .LBB3_333
; %bb.207:                              ;   in Loop: Header=BB3_150 Depth=1
	s_wait_alu 0xfffe
	s_or_saveexec_b32 s7, s7
	v_mov_b32_e32 v162, 0x7c01
	s_wait_alu 0xfffe
	s_xor_b32 exec_lo, exec_lo, s7
	s_cbranch_execnz .LBB3_336
.LBB3_208:                              ;   in Loop: Header=BB3_150 Depth=1
	s_or_b32 exec_lo, exec_lo, s7
	s_and_saveexec_b32 s7, s6
	s_cbranch_execz .LBB3_210
.LBB3_209:                              ;   in Loop: Header=BB3_150 Depth=1
	v_lshrrev_b16 v132, 3, v161
	s_delay_alu instid0(VALU_DEP_1) | instskip(NEXT) | instid1(VALU_DEP_1)
	v_and_b32_e32 v132, 15, v132
	v_cmp_eq_u16_e64 vcc_lo, 0, v132
	v_and_b32_e32 v163, 0xffff, v132
	v_and_b32_e32 v130, 7, v161
	v_lshrrev_b16 v161, 7, v161
	s_delay_alu instid0(VALU_DEP_2) | instskip(NEXT) | instid1(VALU_DEP_2)
	v_clz_i32_u32_e32 v131, v130
	v_and_b32_e32 v132, 1, v161
	s_delay_alu instid0(VALU_DEP_2) | instskip(NEXT) | instid1(VALU_DEP_2)
	v_min_u32_e32 v131, 32, v131
	v_lshlrev_b32_e32 v132, 15, v132
	s_delay_alu instid0(VALU_DEP_2) | instskip(SKIP_2) | instid1(VALU_DEP_1)
	v_subrev_nc_u32_e32 v162, 28, v131
	v_sub_nc_u32_e32 v131, 29, v131
	s_wait_alu 0xfffd
	v_dual_cndmask_b32 v131, v163, v131 :: v_dual_lshlrev_b32 v162, v162, v130
	s_delay_alu instid0(VALU_DEP_1) | instskip(NEXT) | instid1(VALU_DEP_2)
	v_lshl_add_u32 v131, v131, 10, 0x1c00
	v_and_b32_e32 v162, 7, v162
	s_delay_alu instid0(VALU_DEP_1) | instskip(NEXT) | instid1(VALU_DEP_1)
	v_cndmask_b32_e32 v130, v130, v162, vcc_lo
	v_lshlrev_b32_e32 v130, 7, v130
	s_delay_alu instid0(VALU_DEP_1)
	v_or3_b32 v162, v132, v131, v130
.LBB3_210:                              ;   in Loop: Header=BB3_150 Depth=1
	s_wait_alu 0xfffe
	s_or_b32 exec_lo, exec_lo, s7
	s_mov_b32 s7, 0
	s_mov_b32 s6, exec_lo
	v_cmpx_lt_i16_e64 0x7f, v133
	s_wait_alu 0xfffe
	s_xor_b32 s6, exec_lo, s6
	s_cbranch_execnz .LBB3_337
; %bb.211:                              ;   in Loop: Header=BB3_150 Depth=1
	s_wait_alu 0xfffe
	s_or_saveexec_b32 s6, s6
	v_mov_b32_e32 v164, 0x7c01
	s_wait_alu 0xfffe
	s_xor_b32 exec_lo, exec_lo, s6
	s_cbranch_execnz .LBB3_340
.LBB3_212:                              ;   in Loop: Header=BB3_150 Depth=1
	s_or_b32 exec_lo, exec_lo, s6
	s_and_saveexec_b32 s6, s7
	s_cbranch_execz .LBB3_214
.LBB3_213:                              ;   in Loop: Header=BB3_150 Depth=1
	v_lshrrev_b16 v132, 3, v133
	s_delay_alu instid0(VALU_DEP_1) | instskip(NEXT) | instid1(VALU_DEP_1)
	v_and_b32_e32 v132, 15, v132
	v_cmp_eq_u16_e64 vcc_lo, 0, v132
	v_and_b32_e32 v163, 0xffff, v132
	v_and_b32_e32 v130, 7, v133
	v_lshrrev_b16 v132, 7, v133
	s_delay_alu instid0(VALU_DEP_2) | instskip(NEXT) | instid1(VALU_DEP_2)
	v_clz_i32_u32_e32 v131, v130
	v_lshlrev_b32_e32 v132, 15, v132
	s_delay_alu instid0(VALU_DEP_2) | instskip(NEXT) | instid1(VALU_DEP_1)
	v_min_u32_e32 v131, 32, v131
	v_subrev_nc_u32_e32 v161, 28, v131
	v_sub_nc_u32_e32 v131, 29, v131
	s_wait_alu 0xfffd
	s_delay_alu instid0(VALU_DEP_1) | instskip(NEXT) | instid1(VALU_DEP_3)
	v_cndmask_b32_e32 v131, v163, v131, vcc_lo
	v_lshlrev_b32_e32 v161, v161, v130
	s_delay_alu instid0(VALU_DEP_2) | instskip(NEXT) | instid1(VALU_DEP_2)
	v_lshl_add_u32 v131, v131, 10, 0x1c00
	v_and_b32_e32 v161, 7, v161
	s_delay_alu instid0(VALU_DEP_1) | instskip(NEXT) | instid1(VALU_DEP_1)
	v_cndmask_b32_e32 v130, v130, v161, vcc_lo
	v_lshlrev_b32_e32 v130, 7, v130
	s_delay_alu instid0(VALU_DEP_1)
	v_or3_b32 v164, v132, v131, v130
.LBB3_214:                              ;   in Loop: Header=BB3_150 Depth=1
	s_wait_alu 0xfffe
	s_or_b32 exec_lo, exec_lo, s6
	v_add_nc_u32_e32 v130, v134, v129
	s_mov_b32 s10, s14
	s_mov_b32 s11, s15
	;; [unrolled: 1-line block ×3, first 2 shown]
	s_mov_b32 s7, exec_lo
	buffer_load_b64 v[130:131], v130, s[8:11], null offen
	s_wait_loadcnt 0x0
	v_and_b32_e32 v132, 0xff, v130
	s_delay_alu instid0(VALU_DEP_1)
	v_cmpx_lt_i16_e64 0x7f, v132
	s_xor_b32 s7, exec_lo, s7
	s_cbranch_execnz .LBB3_341
; %bb.215:                              ;   in Loop: Header=BB3_150 Depth=1
	s_wait_alu 0xfffe
	s_or_saveexec_b32 s7, s7
	v_mov_b32_e32 v161, 0x7c01
	s_wait_alu 0xfffe
	s_xor_b32 exec_lo, exec_lo, s7
	s_cbranch_execnz .LBB3_344
.LBB3_216:                              ;   in Loop: Header=BB3_150 Depth=1
	s_or_b32 exec_lo, exec_lo, s7
	s_and_saveexec_b32 s7, s6
	s_cbranch_execz .LBB3_218
.LBB3_217:                              ;   in Loop: Header=BB3_150 Depth=1
	v_lshrrev_b16 v161, 3, v130
	s_delay_alu instid0(VALU_DEP_1) | instskip(NEXT) | instid1(VALU_DEP_1)
	v_and_b32_e32 v161, 15, v161
	v_and_b32_e32 v165, 0xffff, v161
	v_cmp_eq_u16_e64 vcc_lo, 0, v161
	v_and_b32_e32 v132, 7, v130
	v_lshlrev_b32_e32 v161, 8, v130
	s_delay_alu instid0(VALU_DEP_2) | instskip(NEXT) | instid1(VALU_DEP_2)
	v_clz_i32_u32_e32 v133, v132
	v_and_b32_e32 v161, 0x8000, v161
	s_delay_alu instid0(VALU_DEP_2) | instskip(NEXT) | instid1(VALU_DEP_1)
	v_min_u32_e32 v133, 32, v133
	v_subrev_nc_u32_e32 v163, 28, v133
	v_sub_nc_u32_e32 v133, 29, v133
	s_delay_alu instid0(VALU_DEP_2) | instskip(SKIP_1) | instid1(VALU_DEP_2)
	v_lshlrev_b32_e32 v163, v163, v130
	s_wait_alu 0xfffd
	v_cndmask_b32_e32 v133, v165, v133, vcc_lo
	s_delay_alu instid0(VALU_DEP_2) | instskip(NEXT) | instid1(VALU_DEP_2)
	v_and_b32_e32 v163, 7, v163
	v_lshl_add_u32 v133, v133, 10, 0x1c00
	s_delay_alu instid0(VALU_DEP_2) | instskip(NEXT) | instid1(VALU_DEP_1)
	v_cndmask_b32_e32 v132, v132, v163, vcc_lo
	v_lshlrev_b32_e32 v132, 7, v132
	s_delay_alu instid0(VALU_DEP_1)
	v_or3_b32 v161, v161, v133, v132
.LBB3_218:                              ;   in Loop: Header=BB3_150 Depth=1
	s_wait_alu 0xfffe
	s_or_b32 exec_lo, exec_lo, s7
	v_lshrrev_b32_e32 v132, 8, v130
	s_mov_b32 s7, 0
	s_mov_b32 s6, exec_lo
	s_delay_alu instid0(VALU_DEP_1) | instskip(NEXT) | instid1(VALU_DEP_1)
	v_and_b32_e32 v133, 0xff, v132
	v_cmpx_lt_i16_e64 0x7f, v133
	s_wait_alu 0xfffe
	s_xor_b32 s6, exec_lo, s6
	s_cbranch_execnz .LBB3_345
; %bb.219:                              ;   in Loop: Header=BB3_150 Depth=1
	s_wait_alu 0xfffe
	s_or_saveexec_b32 s6, s6
	v_mov_b32_e32 v163, 0x7c01
	s_wait_alu 0xfffe
	s_xor_b32 exec_lo, exec_lo, s6
	s_cbranch_execnz .LBB3_348
.LBB3_220:                              ;   in Loop: Header=BB3_150 Depth=1
	s_or_b32 exec_lo, exec_lo, s6
	s_and_saveexec_b32 s6, s7
	s_cbranch_execz .LBB3_222
.LBB3_221:                              ;   in Loop: Header=BB3_150 Depth=1
	v_and_b32_e32 v133, 7, v132
	v_lshrrev_b16 v163, 7, v132
	v_lshrrev_b16 v132, 3, v132
	s_delay_alu instid0(VALU_DEP_1) | instskip(NEXT) | instid1(VALU_DEP_1)
	v_and_b32_e32 v132, 15, v132
	v_and_b32_e32 v165, 0xffff, v132
	v_cmp_eq_u16_e64 vcc_lo, 0, v132
	v_clz_i32_u32_e32 v132, v133
	s_delay_alu instid0(VALU_DEP_1) | instskip(NEXT) | instid1(VALU_DEP_1)
	v_min_u32_e32 v132, 32, v132
	v_subrev_nc_u32_e32 v166, 28, v132
	v_sub_nc_u32_e32 v132, 29, v132
	v_and_b32_e32 v163, 1, v163
	s_delay_alu instid0(VALU_DEP_3) | instskip(SKIP_1) | instid1(VALU_DEP_2)
	v_lshlrev_b32_e32 v166, v166, v133
	s_wait_alu 0xfffd
	v_dual_cndmask_b32 v132, v165, v132 :: v_dual_lshlrev_b32 v163, 15, v163
	s_delay_alu instid0(VALU_DEP_2) | instskip(NEXT) | instid1(VALU_DEP_2)
	v_and_b32_e32 v166, 7, v166
	v_lshl_add_u32 v132, v132, 10, 0x1c00
	s_delay_alu instid0(VALU_DEP_2) | instskip(NEXT) | instid1(VALU_DEP_1)
	v_cndmask_b32_e32 v133, v133, v166, vcc_lo
	v_lshlrev_b32_e32 v133, 7, v133
	s_delay_alu instid0(VALU_DEP_1)
	v_or3_b32 v163, v163, v132, v133
.LBB3_222:                              ;   in Loop: Header=BB3_150 Depth=1
	s_wait_alu 0xfffe
	s_or_b32 exec_lo, exec_lo, s6
	v_lshrrev_b64 v[132:133], 24, v[130:131]
	v_lshrrev_b32_e32 v130, 16, v130
	v_lshrrev_b32_e32 v133, 24, v131
	;; [unrolled: 1-line block ×4, first 2 shown]
	s_mov_b32 s6, 0
	v_and_b32_e32 v166, 0xff, v130
	s_mov_b32 s7, exec_lo
	s_delay_alu instid0(VALU_DEP_1)
	v_cmpx_lt_i16_e64 0x7f, v166
	s_wait_alu 0xfffe
	s_xor_b32 s7, exec_lo, s7
	s_cbranch_execnz .LBB3_349
; %bb.223:                              ;   in Loop: Header=BB3_150 Depth=1
	s_wait_alu 0xfffe
	s_or_saveexec_b32 s7, s7
	v_mov_b32_e32 v165, 0x7c01
	s_wait_alu 0xfffe
	s_xor_b32 exec_lo, exec_lo, s7
	s_cbranch_execnz .LBB3_352
.LBB3_224:                              ;   in Loop: Header=BB3_150 Depth=1
	s_or_b32 exec_lo, exec_lo, s7
	s_and_saveexec_b32 s7, s6
	s_cbranch_execz .LBB3_226
.LBB3_225:                              ;   in Loop: Header=BB3_150 Depth=1
	v_and_b32_e32 v165, 7, v130
	v_lshrrev_b16 v167, 3, v130
	v_lshrrev_b16 v130, 7, v130
	s_delay_alu instid0(VALU_DEP_3) | instskip(NEXT) | instid1(VALU_DEP_1)
	v_clz_i32_u32_e32 v166, v165
	v_min_u32_e32 v166, 32, v166
	s_delay_alu instid0(VALU_DEP_1) | instskip(SKIP_2) | instid1(VALU_DEP_3)
	v_subrev_nc_u32_e32 v168, 28, v166
	v_sub_nc_u32_e32 v166, 29, v166
	v_and_b32_e32 v167, 15, v167
	v_lshlrev_b32_e32 v168, v168, v165
	s_delay_alu instid0(VALU_DEP_2) | instskip(SKIP_1) | instid1(VALU_DEP_3)
	v_and_b32_e32 v171, 0xffff, v167
	v_cmp_eq_u16_e64 vcc_lo, 0, v167
	v_and_b32_e32 v168, 7, v168
	v_and_b32_e32 v130, 1, v130
	s_wait_alu 0xfffd
	s_delay_alu instid0(VALU_DEP_2) | instskip(NEXT) | instid1(VALU_DEP_2)
	v_dual_cndmask_b32 v166, v171, v166 :: v_dual_cndmask_b32 v165, v165, v168
	v_lshlrev_b32_e32 v130, 15, v130
	s_delay_alu instid0(VALU_DEP_2) | instskip(NEXT) | instid1(VALU_DEP_3)
	v_lshl_add_u32 v166, v166, 10, 0x1c00
	v_lshlrev_b32_e32 v165, 7, v165
	s_delay_alu instid0(VALU_DEP_1)
	v_or3_b32 v165, v130, v166, v165
.LBB3_226:                              ;   in Loop: Header=BB3_150 Depth=1
	s_wait_alu 0xfffe
	s_or_b32 exec_lo, exec_lo, s7
	v_and_b32_e32 v130, 0xff, v132
	s_mov_b32 s6, 0
	s_mov_b32 s7, exec_lo
	s_delay_alu instid0(VALU_DEP_1)
	v_cmpx_lt_i16_e64 0x7f, v130
	s_wait_alu 0xfffe
	s_xor_b32 s7, exec_lo, s7
	s_cbranch_execnz .LBB3_353
; %bb.227:                              ;   in Loop: Header=BB3_150 Depth=1
	s_wait_alu 0xfffe
	s_or_saveexec_b32 s7, s7
	v_mov_b32_e32 v166, 0x7c01
	s_wait_alu 0xfffe
	s_xor_b32 exec_lo, exec_lo, s7
	s_cbranch_execnz .LBB3_356
.LBB3_228:                              ;   in Loop: Header=BB3_150 Depth=1
	s_or_b32 exec_lo, exec_lo, s7
	s_and_saveexec_b32 s7, s6
	s_cbranch_execz .LBB3_230
.LBB3_229:                              ;   in Loop: Header=BB3_150 Depth=1
	v_and_b32_e32 v130, 7, v132
	v_lshrrev_b16 v167, 3, v132
	v_lshrrev_b16 v132, 7, v132
	s_delay_alu instid0(VALU_DEP_3) | instskip(NEXT) | instid1(VALU_DEP_2)
	v_clz_i32_u32_e32 v166, v130
	v_and_b32_e32 v132, 1, v132
	s_delay_alu instid0(VALU_DEP_2) | instskip(NEXT) | instid1(VALU_DEP_2)
	v_min_u32_e32 v166, 32, v166
	v_lshlrev_b32_e32 v132, 15, v132
	s_delay_alu instid0(VALU_DEP_2) | instskip(SKIP_1) | instid1(VALU_DEP_2)
	v_subrev_nc_u32_e32 v168, 28, v166
	v_sub_nc_u32_e32 v166, 29, v166
	v_lshlrev_b32_e32 v168, v168, v130
	s_delay_alu instid0(VALU_DEP_1) | instskip(SKIP_1) | instid1(VALU_DEP_1)
	v_and_b32_e32 v168, 7, v168
	v_and_b32_e32 v167, 15, v167
	v_cmp_eq_u16_e64 vcc_lo, 0, v167
	s_wait_alu 0xfffd
	s_delay_alu instid0(VALU_DEP_3) | instskip(NEXT) | instid1(VALU_DEP_1)
	v_dual_cndmask_b32 v130, v130, v168 :: v_dual_and_b32 v171, 0xffff, v167
	v_lshlrev_b32_e32 v130, 7, v130
	s_delay_alu instid0(VALU_DEP_2) | instskip(NEXT) | instid1(VALU_DEP_1)
	v_cndmask_b32_e32 v166, v171, v166, vcc_lo
	v_lshl_add_u32 v166, v166, 10, 0x1c00
	s_delay_alu instid0(VALU_DEP_1)
	v_or3_b32 v166, v132, v166, v130
.LBB3_230:                              ;   in Loop: Header=BB3_150 Depth=1
	s_wait_alu 0xfffe
	s_or_b32 exec_lo, exec_lo, s7
	v_and_b32_e32 v130, 0xff, v131
	s_mov_b32 s6, 0
	s_mov_b32 s7, exec_lo
	s_delay_alu instid0(VALU_DEP_1)
	v_cmpx_lt_i16_e64 0x7f, v130
	s_wait_alu 0xfffe
	s_xor_b32 s7, exec_lo, s7
	s_cbranch_execnz .LBB3_357
; %bb.231:                              ;   in Loop: Header=BB3_150 Depth=1
	s_wait_alu 0xfffe
	s_or_saveexec_b32 s7, s7
	v_mov_b32_e32 v167, 0x7c01
	s_wait_alu 0xfffe
	s_xor_b32 exec_lo, exec_lo, s7
	s_cbranch_execnz .LBB3_360
.LBB3_232:                              ;   in Loop: Header=BB3_150 Depth=1
	s_or_b32 exec_lo, exec_lo, s7
	s_and_saveexec_b32 s7, s6
	s_cbranch_execz .LBB3_234
.LBB3_233:                              ;   in Loop: Header=BB3_150 Depth=1
	v_and_b32_e32 v130, 7, v131
	v_lshrrev_b16 v167, 3, v131
	s_delay_alu instid0(VALU_DEP_2) | instskip(NEXT) | instid1(VALU_DEP_1)
	v_clz_i32_u32_e32 v132, v130
	v_min_u32_e32 v132, 32, v132
	s_delay_alu instid0(VALU_DEP_1) | instskip(SKIP_1) | instid1(VALU_DEP_2)
	v_subrev_nc_u32_e32 v168, 28, v132
	v_sub_nc_u32_e32 v132, 29, v132
	v_lshlrev_b32_e32 v168, v168, v131
	s_delay_alu instid0(VALU_DEP_1) | instskip(SKIP_1) | instid1(VALU_DEP_1)
	v_and_b32_e32 v168, 7, v168
	v_and_b32_e32 v167, 15, v167
	v_cmp_eq_u16_e64 vcc_lo, 0, v167
	s_wait_alu 0xfffd
	s_delay_alu instid0(VALU_DEP_3) | instskip(SKIP_1) | instid1(VALU_DEP_2)
	v_dual_cndmask_b32 v130, v130, v168 :: v_dual_and_b32 v171, 0xffff, v167
	v_lshlrev_b32_e32 v131, 8, v131
	v_lshlrev_b32_e32 v130, 7, v130
	s_delay_alu instid0(VALU_DEP_2) | instskip(NEXT) | instid1(VALU_DEP_1)
	v_dual_cndmask_b32 v132, v171, v132 :: v_dual_and_b32 v131, 0x8000, v131
	v_lshl_add_u32 v132, v132, 10, 0x1c00
	s_delay_alu instid0(VALU_DEP_1)
	v_or3_b32 v167, v131, v132, v130
.LBB3_234:                              ;   in Loop: Header=BB3_150 Depth=1
	s_wait_alu 0xfffe
	s_or_b32 exec_lo, exec_lo, s7
	v_and_b32_e32 v130, 0xff, v169
	s_mov_b32 s6, 0
	s_mov_b32 s7, exec_lo
	s_delay_alu instid0(VALU_DEP_1)
	v_cmpx_lt_i16_e64 0x7f, v130
	s_wait_alu 0xfffe
	s_xor_b32 s7, exec_lo, s7
	s_cbranch_execnz .LBB3_361
; %bb.235:                              ;   in Loop: Header=BB3_150 Depth=1
	s_wait_alu 0xfffe
	s_or_saveexec_b32 s7, s7
	v_mov_b32_e32 v168, 0x7c01
	s_wait_alu 0xfffe
	s_xor_b32 exec_lo, exec_lo, s7
	s_cbranch_execnz .LBB3_364
.LBB3_236:                              ;   in Loop: Header=BB3_150 Depth=1
	s_or_b32 exec_lo, exec_lo, s7
	s_and_saveexec_b32 s7, s6
	s_cbranch_execz .LBB3_238
.LBB3_237:                              ;   in Loop: Header=BB3_150 Depth=1
	v_lshrrev_b16 v132, 3, v169
	s_delay_alu instid0(VALU_DEP_1) | instskip(NEXT) | instid1(VALU_DEP_1)
	v_and_b32_e32 v132, 15, v132
	v_and_b32_e32 v171, 0xffff, v132
	v_cmp_eq_u16_e64 vcc_lo, 0, v132
	v_and_b32_e32 v130, 7, v169
	v_lshrrev_b16 v169, 7, v169
	s_delay_alu instid0(VALU_DEP_2) | instskip(NEXT) | instid1(VALU_DEP_2)
	v_clz_i32_u32_e32 v131, v130
	v_and_b32_e32 v132, 1, v169
	s_delay_alu instid0(VALU_DEP_2) | instskip(NEXT) | instid1(VALU_DEP_2)
	v_min_u32_e32 v131, 32, v131
	v_lshlrev_b32_e32 v132, 15, v132
	s_delay_alu instid0(VALU_DEP_2) | instskip(SKIP_2) | instid1(VALU_DEP_1)
	v_subrev_nc_u32_e32 v168, 28, v131
	v_sub_nc_u32_e32 v131, 29, v131
	s_wait_alu 0xfffd
	v_dual_cndmask_b32 v131, v171, v131 :: v_dual_lshlrev_b32 v168, v168, v130
	s_delay_alu instid0(VALU_DEP_1) | instskip(NEXT) | instid1(VALU_DEP_2)
	v_lshl_add_u32 v131, v131, 10, 0x1c00
	v_and_b32_e32 v168, 7, v168
	s_delay_alu instid0(VALU_DEP_1) | instskip(NEXT) | instid1(VALU_DEP_1)
	v_cndmask_b32_e32 v130, v130, v168, vcc_lo
	v_lshlrev_b32_e32 v130, 7, v130
	s_delay_alu instid0(VALU_DEP_1)
	v_or3_b32 v168, v132, v131, v130
.LBB3_238:                              ;   in Loop: Header=BB3_150 Depth=1
	s_wait_alu 0xfffe
	s_or_b32 exec_lo, exec_lo, s7
	v_and_b32_e32 v130, 0xff, v170
	s_mov_b32 s6, 0
	s_mov_b32 s7, exec_lo
	s_delay_alu instid0(VALU_DEP_1)
	v_cmpx_lt_i16_e64 0x7f, v130
	s_wait_alu 0xfffe
	s_xor_b32 s7, exec_lo, s7
	s_cbranch_execnz .LBB3_365
; %bb.239:                              ;   in Loop: Header=BB3_150 Depth=1
	s_wait_alu 0xfffe
	s_or_saveexec_b32 s7, s7
	v_mov_b32_e32 v169, 0x7c01
	s_wait_alu 0xfffe
	s_xor_b32 exec_lo, exec_lo, s7
	s_cbranch_execnz .LBB3_368
.LBB3_240:                              ;   in Loop: Header=BB3_150 Depth=1
	s_or_b32 exec_lo, exec_lo, s7
	s_and_saveexec_b32 s7, s6
	s_cbranch_execz .LBB3_242
.LBB3_241:                              ;   in Loop: Header=BB3_150 Depth=1
	v_lshrrev_b16 v132, 3, v170
	s_delay_alu instid0(VALU_DEP_1) | instskip(NEXT) | instid1(VALU_DEP_1)
	v_and_b32_e32 v132, 15, v132
	v_cmp_eq_u16_e64 vcc_lo, 0, v132
	v_and_b32_e32 v171, 0xffff, v132
	v_and_b32_e32 v130, 7, v170
	v_lshrrev_b16 v170, 7, v170
	s_delay_alu instid0(VALU_DEP_2) | instskip(NEXT) | instid1(VALU_DEP_2)
	v_clz_i32_u32_e32 v131, v130
	v_and_b32_e32 v132, 1, v170
	s_delay_alu instid0(VALU_DEP_2) | instskip(NEXT) | instid1(VALU_DEP_2)
	v_min_u32_e32 v131, 32, v131
	v_lshlrev_b32_e32 v132, 15, v132
	s_delay_alu instid0(VALU_DEP_2) | instskip(SKIP_2) | instid1(VALU_DEP_1)
	v_subrev_nc_u32_e32 v169, 28, v131
	v_sub_nc_u32_e32 v131, 29, v131
	s_wait_alu 0xfffd
	v_cndmask_b32_e32 v131, v171, v131, vcc_lo
	s_delay_alu instid0(VALU_DEP_3) | instskip(NEXT) | instid1(VALU_DEP_2)
	v_lshlrev_b32_e32 v169, v169, v130
	v_lshl_add_u32 v131, v131, 10, 0x1c00
	s_delay_alu instid0(VALU_DEP_2) | instskip(NEXT) | instid1(VALU_DEP_1)
	v_and_b32_e32 v169, 7, v169
	v_cndmask_b32_e32 v130, v130, v169, vcc_lo
	s_delay_alu instid0(VALU_DEP_1) | instskip(NEXT) | instid1(VALU_DEP_1)
	v_lshlrev_b32_e32 v130, 7, v130
	v_or3_b32 v169, v132, v131, v130
.LBB3_242:                              ;   in Loop: Header=BB3_150 Depth=1
	s_wait_alu 0xfffe
	s_or_b32 exec_lo, exec_lo, s7
	s_mov_b32 s7, 0
	s_mov_b32 s6, exec_lo
	v_cmpx_lt_i16_e64 0x7f, v133
	s_wait_alu 0xfffe
	s_xor_b32 s6, exec_lo, s6
	s_cbranch_execnz .LBB3_369
; %bb.243:                              ;   in Loop: Header=BB3_150 Depth=1
	s_wait_alu 0xfffe
	s_or_saveexec_b32 s6, s6
	v_mov_b32_e32 v170, 0x7c01
	s_wait_alu 0xfffe
	s_xor_b32 exec_lo, exec_lo, s6
	s_cbranch_execnz .LBB3_372
.LBB3_244:                              ;   in Loop: Header=BB3_150 Depth=1
	s_or_b32 exec_lo, exec_lo, s6
	s_and_saveexec_b32 s6, s7
	s_cbranch_execz .LBB3_246
.LBB3_245:                              ;   in Loop: Header=BB3_150 Depth=1
	v_lshrrev_b16 v132, 3, v133
	s_delay_alu instid0(VALU_DEP_1) | instskip(NEXT) | instid1(VALU_DEP_1)
	v_and_b32_e32 v132, 15, v132
	v_cmp_eq_u16_e64 vcc_lo, 0, v132
	v_and_b32_e32 v171, 0xffff, v132
	v_and_b32_e32 v130, 7, v133
	v_lshrrev_b16 v132, 7, v133
	s_delay_alu instid0(VALU_DEP_2) | instskip(NEXT) | instid1(VALU_DEP_2)
	v_clz_i32_u32_e32 v131, v130
	v_lshlrev_b32_e32 v132, 15, v132
	s_delay_alu instid0(VALU_DEP_2) | instskip(NEXT) | instid1(VALU_DEP_1)
	v_min_u32_e32 v131, 32, v131
	v_subrev_nc_u32_e32 v170, 28, v131
	v_sub_nc_u32_e32 v131, 29, v131
	s_wait_alu 0xfffd
	s_delay_alu instid0(VALU_DEP_1) | instskip(NEXT) | instid1(VALU_DEP_1)
	v_dual_cndmask_b32 v131, v171, v131 :: v_dual_lshlrev_b32 v170, v170, v130
	v_lshl_add_u32 v131, v131, 10, 0x1c00
	s_delay_alu instid0(VALU_DEP_2) | instskip(NEXT) | instid1(VALU_DEP_1)
	v_and_b32_e32 v170, 7, v170
	v_cndmask_b32_e32 v130, v130, v170, vcc_lo
	s_delay_alu instid0(VALU_DEP_1) | instskip(NEXT) | instid1(VALU_DEP_1)
	v_lshlrev_b32_e32 v130, 7, v130
	v_or3_b32 v170, v132, v131, v130
.LBB3_246:                              ;   in Loop: Header=BB3_150 Depth=1
	s_wait_alu 0xfffe
	s_or_b32 exec_lo, exec_lo, s6
	v_add_nc_u32_e32 v130, v134, v128
	s_mov_b32 s10, s14
	s_mov_b32 s11, s15
	;; [unrolled: 1-line block ×3, first 2 shown]
	s_mov_b32 s7, exec_lo
	buffer_load_b64 v[130:131], v130, s[8:11], null offen
	s_wait_loadcnt 0x0
	v_and_b32_e32 v132, 0xff, v130
	s_delay_alu instid0(VALU_DEP_1)
	v_cmpx_lt_i16_e64 0x7f, v132
	s_xor_b32 s7, exec_lo, s7
	s_cbranch_execnz .LBB3_373
; %bb.247:                              ;   in Loop: Header=BB3_150 Depth=1
	s_wait_alu 0xfffe
	s_or_saveexec_b32 s7, s7
	v_mov_b32_e32 v171, 0x7c01
	s_wait_alu 0xfffe
	s_xor_b32 exec_lo, exec_lo, s7
	s_cbranch_execnz .LBB3_376
.LBB3_248:                              ;   in Loop: Header=BB3_150 Depth=1
	s_or_b32 exec_lo, exec_lo, s7
	s_and_saveexec_b32 s7, s6
	s_cbranch_execz .LBB3_250
.LBB3_249:                              ;   in Loop: Header=BB3_150 Depth=1
	v_lshrrev_b16 v171, 3, v130
	s_delay_alu instid0(VALU_DEP_1) | instskip(NEXT) | instid1(VALU_DEP_1)
	v_and_b32_e32 v171, 15, v171
	v_and_b32_e32 v173, 0xffff, v171
	v_cmp_eq_u16_e64 vcc_lo, 0, v171
	v_and_b32_e32 v132, 7, v130
	v_lshlrev_b32_e32 v171, 8, v130
	s_delay_alu instid0(VALU_DEP_2) | instskip(NEXT) | instid1(VALU_DEP_2)
	v_clz_i32_u32_e32 v133, v132
	v_and_b32_e32 v171, 0x8000, v171
	s_delay_alu instid0(VALU_DEP_2) | instskip(NEXT) | instid1(VALU_DEP_1)
	v_min_u32_e32 v133, 32, v133
	v_subrev_nc_u32_e32 v172, 28, v133
	v_sub_nc_u32_e32 v133, 29, v133
	s_wait_alu 0xfffd
	s_delay_alu instid0(VALU_DEP_1) | instskip(NEXT) | instid1(VALU_DEP_1)
	v_dual_cndmask_b32 v133, v173, v133 :: v_dual_lshlrev_b32 v172, v172, v130
	v_and_b32_e32 v172, 7, v172
	s_delay_alu instid0(VALU_DEP_2) | instskip(NEXT) | instid1(VALU_DEP_2)
	v_lshl_add_u32 v133, v133, 10, 0x1c00
	v_cndmask_b32_e32 v132, v132, v172, vcc_lo
	s_delay_alu instid0(VALU_DEP_1) | instskip(NEXT) | instid1(VALU_DEP_1)
	v_lshlrev_b32_e32 v132, 7, v132
	v_or3_b32 v171, v171, v133, v132
.LBB3_250:                              ;   in Loop: Header=BB3_150 Depth=1
	s_wait_alu 0xfffe
	s_or_b32 exec_lo, exec_lo, s7
	v_lshrrev_b32_e32 v132, 8, v130
	s_mov_b32 s6, 0
	s_mov_b32 s7, exec_lo
	s_delay_alu instid0(VALU_DEP_1) | instskip(NEXT) | instid1(VALU_DEP_1)
	v_and_b32_e32 v133, 0xff, v132
	v_cmpx_lt_i16_e64 0x7f, v133
	s_wait_alu 0xfffe
	s_xor_b32 s7, exec_lo, s7
	s_cbranch_execnz .LBB3_377
; %bb.251:                              ;   in Loop: Header=BB3_150 Depth=1
	s_wait_alu 0xfffe
	s_or_saveexec_b32 s7, s7
	v_mov_b32_e32 v172, 0x7c01
	s_wait_alu 0xfffe
	s_xor_b32 exec_lo, exec_lo, s7
	s_cbranch_execnz .LBB3_380
.LBB3_252:                              ;   in Loop: Header=BB3_150 Depth=1
	s_or_b32 exec_lo, exec_lo, s7
	s_and_saveexec_b32 s7, s6
	s_cbranch_execz .LBB3_254
.LBB3_253:                              ;   in Loop: Header=BB3_150 Depth=1
	v_and_b32_e32 v133, 7, v132
	v_lshrrev_b16 v173, 3, v132
	v_lshrrev_b16 v132, 7, v132
	s_delay_alu instid0(VALU_DEP_3) | instskip(NEXT) | instid1(VALU_DEP_1)
	v_clz_i32_u32_e32 v172, v133
	v_min_u32_e32 v172, 32, v172
	s_delay_alu instid0(VALU_DEP_1) | instskip(SKIP_2) | instid1(VALU_DEP_3)
	v_subrev_nc_u32_e32 v174, 28, v172
	v_sub_nc_u32_e32 v172, 29, v172
	v_and_b32_e32 v173, 15, v173
	v_lshlrev_b32_e32 v174, v174, v133
	s_delay_alu instid0(VALU_DEP_2) | instskip(SKIP_1) | instid1(VALU_DEP_3)
	v_and_b32_e32 v175, 0xffff, v173
	v_cmp_eq_u16_e64 vcc_lo, 0, v173
	v_and_b32_e32 v174, 7, v174
	v_and_b32_e32 v132, 1, v132
	s_wait_alu 0xfffd
	s_delay_alu instid0(VALU_DEP_2) | instskip(NEXT) | instid1(VALU_DEP_2)
	v_dual_cndmask_b32 v172, v175, v172 :: v_dual_cndmask_b32 v133, v133, v174
	v_lshlrev_b32_e32 v132, 15, v132
	s_delay_alu instid0(VALU_DEP_2) | instskip(NEXT) | instid1(VALU_DEP_3)
	v_lshl_add_u32 v172, v172, 10, 0x1c00
	v_lshlrev_b32_e32 v133, 7, v133
	s_delay_alu instid0(VALU_DEP_1)
	v_or3_b32 v172, v132, v172, v133
.LBB3_254:                              ;   in Loop: Header=BB3_150 Depth=1
	s_wait_alu 0xfffe
	s_or_b32 exec_lo, exec_lo, s7
	v_lshrrev_b64 v[132:133], 24, v[130:131]
	v_lshrrev_b32_e32 v133, 16, v130
	v_lshrrev_b32_e32 v173, 24, v131
	;; [unrolled: 1-line block ×4, first 2 shown]
	s_mov_b32 s6, 0
	v_and_b32_e32 v176, 0xff, v133
	s_mov_b32 s7, exec_lo
	s_delay_alu instid0(VALU_DEP_1)
	v_cmpx_lt_i16_e64 0x7f, v176
	s_wait_alu 0xfffe
	s_xor_b32 s7, exec_lo, s7
	s_cbranch_execnz .LBB3_381
; %bb.255:                              ;   in Loop: Header=BB3_150 Depth=1
	s_wait_alu 0xfffe
	s_or_saveexec_b32 s7, s7
	v_mov_b32_e32 v130, 0x7c01
	s_wait_alu 0xfffe
	s_xor_b32 exec_lo, exec_lo, s7
	s_cbranch_execnz .LBB3_384
.LBB3_256:                              ;   in Loop: Header=BB3_150 Depth=1
	s_or_b32 exec_lo, exec_lo, s7
	s_and_saveexec_b32 s7, s6
	s_cbranch_execz .LBB3_258
.LBB3_257:                              ;   in Loop: Header=BB3_150 Depth=1
	v_and_b32_e32 v130, 7, v133
	v_lshrrev_b16 v177, 3, v133
	v_lshrrev_b16 v133, 7, v133
	s_delay_alu instid0(VALU_DEP_3) | instskip(NEXT) | instid1(VALU_DEP_1)
	v_clz_i32_u32_e32 v176, v130
	v_min_u32_e32 v176, 32, v176
	s_delay_alu instid0(VALU_DEP_1) | instskip(SKIP_1) | instid1(VALU_DEP_2)
	v_subrev_nc_u32_e32 v178, 28, v176
	v_sub_nc_u32_e32 v176, 29, v176
	v_lshlrev_b32_e32 v178, v178, v130
	s_delay_alu instid0(VALU_DEP_1) | instskip(SKIP_1) | instid1(VALU_DEP_1)
	v_and_b32_e32 v178, 7, v178
	v_and_b32_e32 v177, 15, v177
	v_cmp_eq_u16_e64 vcc_lo, 0, v177
	s_wait_alu 0xfffd
	s_delay_alu instid0(VALU_DEP_3) | instskip(SKIP_1) | instid1(VALU_DEP_2)
	v_dual_cndmask_b32 v130, v130, v178 :: v_dual_and_b32 v179, 0xffff, v177
	v_and_b32_e32 v133, 1, v133
	v_lshlrev_b32_e32 v130, 7, v130
	s_delay_alu instid0(VALU_DEP_2) | instskip(NEXT) | instid1(VALU_DEP_1)
	v_dual_cndmask_b32 v176, v179, v176 :: v_dual_lshlrev_b32 v133, 15, v133
	v_lshl_add_u32 v176, v176, 10, 0x1c00
	s_delay_alu instid0(VALU_DEP_1)
	v_or3_b32 v130, v133, v176, v130
.LBB3_258:                              ;   in Loop: Header=BB3_150 Depth=1
	s_wait_alu 0xfffe
	s_or_b32 exec_lo, exec_lo, s7
	v_and_b32_e32 v176, 0xff, v132
	s_mov_b32 s6, 0
	s_mov_b32 s7, exec_lo
	s_delay_alu instid0(VALU_DEP_1)
	v_cmpx_lt_i16_e64 0x7f, v176
	s_wait_alu 0xfffe
	s_xor_b32 s7, exec_lo, s7
	s_cbranch_execnz .LBB3_385
; %bb.259:                              ;   in Loop: Header=BB3_150 Depth=1
	s_wait_alu 0xfffe
	s_or_saveexec_b32 s7, s7
	v_mov_b32_e32 v133, 0x7c01
	s_wait_alu 0xfffe
	s_xor_b32 exec_lo, exec_lo, s7
	s_cbranch_execnz .LBB3_388
.LBB3_260:                              ;   in Loop: Header=BB3_150 Depth=1
	s_or_b32 exec_lo, exec_lo, s7
	s_and_saveexec_b32 s7, s6
	s_cbranch_execz .LBB3_262
.LBB3_261:                              ;   in Loop: Header=BB3_150 Depth=1
	v_and_b32_e32 v133, 7, v132
	v_lshrrev_b16 v177, 3, v132
	v_lshrrev_b16 v132, 7, v132
	s_delay_alu instid0(VALU_DEP_3) | instskip(NEXT) | instid1(VALU_DEP_1)
	v_clz_i32_u32_e32 v176, v133
	v_min_u32_e32 v176, 32, v176
	s_delay_alu instid0(VALU_DEP_1) | instskip(SKIP_2) | instid1(VALU_DEP_3)
	v_subrev_nc_u32_e32 v178, 28, v176
	v_sub_nc_u32_e32 v176, 29, v176
	v_and_b32_e32 v177, 15, v177
	v_lshlrev_b32_e32 v178, v178, v133
	s_delay_alu instid0(VALU_DEP_2) | instskip(SKIP_1) | instid1(VALU_DEP_3)
	v_and_b32_e32 v179, 0xffff, v177
	v_cmp_eq_u16_e64 vcc_lo, 0, v177
	v_and_b32_e32 v178, 7, v178
	v_and_b32_e32 v132, 1, v132
	s_wait_alu 0xfffd
	s_delay_alu instid0(VALU_DEP_2) | instskip(NEXT) | instid1(VALU_DEP_2)
	v_dual_cndmask_b32 v176, v179, v176 :: v_dual_cndmask_b32 v133, v133, v178
	v_lshlrev_b32_e32 v132, 15, v132
	s_delay_alu instid0(VALU_DEP_2) | instskip(NEXT) | instid1(VALU_DEP_3)
	v_lshl_add_u32 v176, v176, 10, 0x1c00
	v_lshlrev_b32_e32 v133, 7, v133
	s_delay_alu instid0(VALU_DEP_1)
	v_or3_b32 v133, v132, v176, v133
.LBB3_262:                              ;   in Loop: Header=BB3_150 Depth=1
	s_wait_alu 0xfffe
	s_or_b32 exec_lo, exec_lo, s7
	v_and_b32_e32 v176, 0xff, v131
	s_mov_b32 s6, 0
	s_mov_b32 s7, exec_lo
	s_delay_alu instid0(VALU_DEP_1)
	v_cmpx_lt_i16_e64 0x7f, v176
	s_wait_alu 0xfffe
	s_xor_b32 s7, exec_lo, s7
	s_cbranch_execnz .LBB3_389
; %bb.263:                              ;   in Loop: Header=BB3_150 Depth=1
	s_wait_alu 0xfffe
	s_or_saveexec_b32 s7, s7
	v_mov_b32_e32 v132, 0x7c01
	s_wait_alu 0xfffe
	s_xor_b32 exec_lo, exec_lo, s7
	s_cbranch_execnz .LBB3_392
.LBB3_264:                              ;   in Loop: Header=BB3_150 Depth=1
	s_or_b32 exec_lo, exec_lo, s7
	s_and_saveexec_b32 s7, s6
	s_cbranch_execz .LBB3_266
.LBB3_265:                              ;   in Loop: Header=BB3_150 Depth=1
	v_and_b32_e32 v132, 7, v131
	v_lshrrev_b16 v177, 3, v131
	s_delay_alu instid0(VALU_DEP_2) | instskip(NEXT) | instid1(VALU_DEP_1)
	v_clz_i32_u32_e32 v176, v132
	v_min_u32_e32 v176, 32, v176
	s_delay_alu instid0(VALU_DEP_1) | instskip(SKIP_1) | instid1(VALU_DEP_2)
	v_subrev_nc_u32_e32 v178, 28, v176
	v_sub_nc_u32_e32 v176, 29, v176
	v_lshlrev_b32_e32 v178, v178, v131
	s_delay_alu instid0(VALU_DEP_1) | instskip(SKIP_1) | instid1(VALU_DEP_1)
	v_and_b32_e32 v178, 7, v178
	v_and_b32_e32 v177, 15, v177
	v_cmp_eq_u16_e64 vcc_lo, 0, v177
	s_wait_alu 0xfffd
	s_delay_alu instid0(VALU_DEP_3) | instskip(SKIP_1) | instid1(VALU_DEP_2)
	v_dual_cndmask_b32 v132, v132, v178 :: v_dual_and_b32 v179, 0xffff, v177
	v_lshlrev_b32_e32 v131, 8, v131
	v_lshlrev_b32_e32 v132, 7, v132
	s_delay_alu instid0(VALU_DEP_2) | instskip(NEXT) | instid1(VALU_DEP_1)
	v_dual_cndmask_b32 v176, v179, v176 :: v_dual_and_b32 v131, 0x8000, v131
	v_lshl_add_u32 v176, v176, 10, 0x1c00
	s_delay_alu instid0(VALU_DEP_1)
	v_or3_b32 v132, v131, v176, v132
.LBB3_266:                              ;   in Loop: Header=BB3_150 Depth=1
	s_wait_alu 0xfffe
	s_or_b32 exec_lo, exec_lo, s7
	v_and_b32_e32 v176, 0xff, v174
	s_mov_b32 s6, 0
	s_mov_b32 s7, exec_lo
	s_delay_alu instid0(VALU_DEP_1)
	v_cmpx_lt_i16_e64 0x7f, v176
	s_wait_alu 0xfffe
	s_xor_b32 s7, exec_lo, s7
	s_cbranch_execnz .LBB3_393
; %bb.267:                              ;   in Loop: Header=BB3_150 Depth=1
	s_wait_alu 0xfffe
	s_or_saveexec_b32 s7, s7
	v_mov_b32_e32 v131, 0x7c01
	s_wait_alu 0xfffe
	s_xor_b32 exec_lo, exec_lo, s7
	s_cbranch_execnz .LBB3_396
.LBB3_268:                              ;   in Loop: Header=BB3_150 Depth=1
	s_or_b32 exec_lo, exec_lo, s7
	s_and_saveexec_b32 s7, s6
	s_cbranch_execz .LBB3_270
.LBB3_269:                              ;   in Loop: Header=BB3_150 Depth=1
	v_lshrrev_b16 v177, 3, v174
	s_delay_alu instid0(VALU_DEP_1) | instskip(NEXT) | instid1(VALU_DEP_1)
	v_and_b32_e32 v177, 15, v177
	v_and_b32_e32 v179, 0xffff, v177
	v_cmp_eq_u16_e64 vcc_lo, 0, v177
	v_and_b32_e32 v131, 7, v174
	v_lshrrev_b16 v174, 7, v174
	s_delay_alu instid0(VALU_DEP_2) | instskip(NEXT) | instid1(VALU_DEP_2)
	v_clz_i32_u32_e32 v176, v131
	v_and_b32_e32 v174, 1, v174
	s_delay_alu instid0(VALU_DEP_2) | instskip(NEXT) | instid1(VALU_DEP_2)
	v_min_u32_e32 v176, 32, v176
	v_lshlrev_b32_e32 v174, 15, v174
	s_delay_alu instid0(VALU_DEP_2) | instskip(SKIP_2) | instid1(VALU_DEP_1)
	v_subrev_nc_u32_e32 v178, 28, v176
	v_sub_nc_u32_e32 v176, 29, v176
	s_wait_alu 0xfffd
	v_cndmask_b32_e32 v176, v179, v176, vcc_lo
	s_delay_alu instid0(VALU_DEP_3) | instskip(NEXT) | instid1(VALU_DEP_2)
	v_lshlrev_b32_e32 v178, v178, v131
	v_lshl_add_u32 v176, v176, 10, 0x1c00
	s_delay_alu instid0(VALU_DEP_2) | instskip(NEXT) | instid1(VALU_DEP_1)
	v_and_b32_e32 v178, 7, v178
	v_cndmask_b32_e32 v131, v131, v178, vcc_lo
	s_delay_alu instid0(VALU_DEP_1) | instskip(NEXT) | instid1(VALU_DEP_1)
	v_lshlrev_b32_e32 v131, 7, v131
	v_or3_b32 v131, v174, v176, v131
.LBB3_270:                              ;   in Loop: Header=BB3_150 Depth=1
	s_wait_alu 0xfffe
	s_or_b32 exec_lo, exec_lo, s7
	v_and_b32_e32 v176, 0xff, v175
	s_mov_b32 s6, 0
	s_mov_b32 s7, exec_lo
	s_delay_alu instid0(VALU_DEP_1)
	v_cmpx_lt_i16_e64 0x7f, v176
	s_wait_alu 0xfffe
	s_xor_b32 s7, exec_lo, s7
	s_cbranch_execnz .LBB3_397
; %bb.271:                              ;   in Loop: Header=BB3_150 Depth=1
	s_wait_alu 0xfffe
	s_or_saveexec_b32 s7, s7
	v_mov_b32_e32 v174, 0x7c01
	s_wait_alu 0xfffe
	s_xor_b32 exec_lo, exec_lo, s7
	s_cbranch_execnz .LBB3_400
.LBB3_272:                              ;   in Loop: Header=BB3_150 Depth=1
	s_or_b32 exec_lo, exec_lo, s7
	s_and_saveexec_b32 s7, s6
	s_cbranch_execz .LBB3_274
.LBB3_273:                              ;   in Loop: Header=BB3_150 Depth=1
	v_and_b32_e32 v174, 7, v175
	v_lshrrev_b16 v177, 3, v175
	v_lshrrev_b16 v175, 7, v175
	s_delay_alu instid0(VALU_DEP_3) | instskip(NEXT) | instid1(VALU_DEP_1)
	v_clz_i32_u32_e32 v176, v174
	v_min_u32_e32 v176, 32, v176
	s_delay_alu instid0(VALU_DEP_1) | instskip(SKIP_1) | instid1(VALU_DEP_2)
	v_subrev_nc_u32_e32 v178, 28, v176
	v_sub_nc_u32_e32 v176, 29, v176
	v_lshlrev_b32_e32 v178, v178, v174
	s_delay_alu instid0(VALU_DEP_1) | instskip(SKIP_1) | instid1(VALU_DEP_1)
	v_and_b32_e32 v178, 7, v178
	v_and_b32_e32 v177, 15, v177
	v_cmp_eq_u16_e64 vcc_lo, 0, v177
	s_wait_alu 0xfffd
	s_delay_alu instid0(VALU_DEP_3) | instskip(SKIP_1) | instid1(VALU_DEP_2)
	v_dual_cndmask_b32 v174, v174, v178 :: v_dual_and_b32 v179, 0xffff, v177
	v_and_b32_e32 v175, 1, v175
	v_lshlrev_b32_e32 v174, 7, v174
	s_delay_alu instid0(VALU_DEP_2) | instskip(NEXT) | instid1(VALU_DEP_1)
	v_dual_cndmask_b32 v176, v179, v176 :: v_dual_lshlrev_b32 v175, 15, v175
	v_lshl_add_u32 v176, v176, 10, 0x1c00
	s_delay_alu instid0(VALU_DEP_1)
	v_or3_b32 v174, v175, v176, v174
.LBB3_274:                              ;   in Loop: Header=BB3_150 Depth=1
	s_wait_alu 0xfffe
	s_or_b32 exec_lo, exec_lo, s7
	s_mov_b32 s7, 0
	s_mov_b32 s6, exec_lo
	v_cmpx_lt_i16_e64 0x7f, v173
	s_wait_alu 0xfffe
	s_xor_b32 s6, exec_lo, s6
	s_cbranch_execnz .LBB3_401
; %bb.275:                              ;   in Loop: Header=BB3_150 Depth=1
	s_wait_alu 0xfffe
	s_or_saveexec_b32 s6, s6
	v_mov_b32_e32 v175, 0x7c01
	s_wait_alu 0xfffe
	s_xor_b32 exec_lo, exec_lo, s6
	s_cbranch_execnz .LBB3_404
.LBB3_276:                              ;   in Loop: Header=BB3_150 Depth=1
	s_or_b32 exec_lo, exec_lo, s6
	s_and_saveexec_b32 s6, s7
	s_cbranch_execz .LBB3_149
	s_branch .LBB3_405
.LBB3_277:                              ;   in Loop: Header=BB3_150 Depth=1
	s_mov_b32 s6, -1
	s_mov_b32 s10, exec_lo
	v_cmpx_eq_u16_e64 0x80, v132
; %bb.278:                              ;   in Loop: Header=BB3_150 Depth=1
	s_xor_b32 s6, exec_lo, -1
; %bb.279:                              ;   in Loop: Header=BB3_150 Depth=1
	s_wait_alu 0xfffe
	s_or_b32 exec_lo, exec_lo, s10
	s_delay_alu instid0(SALU_CYCLE_1)
	s_and_b32 s6, s6, exec_lo
                                        ; implicit-def: $vgpr132
	s_or_saveexec_b32 s7, s7
	v_mov_b32_e32 v142, 0x7c01
	s_wait_alu 0xfffe
	s_xor_b32 exec_lo, exec_lo, s7
	s_cbranch_execz .LBB3_152
.LBB3_280:                              ;   in Loop: Header=BB3_150 Depth=1
	v_cmp_ne_u16_e64 vcc_lo, 0, v132
	v_mov_b32_e32 v142, 0
	s_and_not1_b32 s6, s6, exec_lo
	s_and_b32 s10, vcc_lo, exec_lo
	s_wait_alu 0xfffe
	s_or_b32 s6, s6, s10
	s_or_b32 exec_lo, exec_lo, s7
	s_wait_alu 0xfffe
	s_and_saveexec_b32 s7, s6
	s_cbranch_execnz .LBB3_153
	s_branch .LBB3_154
.LBB3_281:                              ;   in Loop: Header=BB3_150 Depth=1
	s_mov_b32 s6, -1
	s_mov_b32 s10, exec_lo
	v_cmpx_eq_u16_e64 0x80, v133
; %bb.282:                              ;   in Loop: Header=BB3_150 Depth=1
	s_xor_b32 s6, exec_lo, -1
; %bb.283:                              ;   in Loop: Header=BB3_150 Depth=1
	s_wait_alu 0xfffe
	s_or_b32 exec_lo, exec_lo, s10
	s_delay_alu instid0(SALU_CYCLE_1)
	s_and_b32 s6, s6, exec_lo
                                        ; implicit-def: $vgpr133
	s_or_saveexec_b32 s7, s7
	v_mov_b32_e32 v143, 0x7c01
	s_wait_alu 0xfffe
	s_xor_b32 exec_lo, exec_lo, s7
	s_cbranch_execz .LBB3_156
.LBB3_284:                              ;   in Loop: Header=BB3_150 Depth=1
	v_cmp_ne_u16_e64 vcc_lo, 0, v133
	v_mov_b32_e32 v143, 0
	s_and_not1_b32 s6, s6, exec_lo
	s_and_b32 s10, vcc_lo, exec_lo
	s_wait_alu 0xfffe
	s_or_b32 s6, s6, s10
	s_or_b32 exec_lo, exec_lo, s7
	s_wait_alu 0xfffe
	s_and_saveexec_b32 s7, s6
	s_cbranch_execnz .LBB3_157
	s_branch .LBB3_158
.LBB3_285:                              ;   in Loop: Header=BB3_150 Depth=1
	s_mov_b32 s6, -1
	s_mov_b32 s10, exec_lo
	v_cmpx_eq_u16_e64 0x80, v147
; %bb.286:                              ;   in Loop: Header=BB3_150 Depth=1
	s_xor_b32 s6, exec_lo, -1
; %bb.287:                              ;   in Loop: Header=BB3_150 Depth=1
	s_wait_alu 0xfffe
	s_or_b32 exec_lo, exec_lo, s10
	s_delay_alu instid0(SALU_CYCLE_1)
	s_and_b32 s6, s6, exec_lo
                                        ; implicit-def: $vgpr147
	s_or_saveexec_b32 s7, s7
	v_mov_b32_e32 v146, 0x7c01
	s_wait_alu 0xfffe
	s_xor_b32 exec_lo, exec_lo, s7
	s_cbranch_execz .LBB3_160
.LBB3_288:                              ;   in Loop: Header=BB3_150 Depth=1
	v_cmp_ne_u16_e64 vcc_lo, 0, v147
	v_mov_b32_e32 v146, 0
	s_and_not1_b32 s6, s6, exec_lo
	s_and_b32 s10, vcc_lo, exec_lo
	s_wait_alu 0xfffe
	s_or_b32 s6, s6, s10
	s_or_b32 exec_lo, exec_lo, s7
	s_wait_alu 0xfffe
	s_and_saveexec_b32 s7, s6
	s_cbranch_execnz .LBB3_161
	s_branch .LBB3_162
.LBB3_289:                              ;   in Loop: Header=BB3_150 Depth=1
	s_mov_b32 s6, -1
	s_mov_b32 s10, exec_lo
	v_cmpx_eq_u16_e64 0x80, v130
; %bb.290:                              ;   in Loop: Header=BB3_150 Depth=1
	s_xor_b32 s6, exec_lo, -1
; %bb.291:                              ;   in Loop: Header=BB3_150 Depth=1
	s_wait_alu 0xfffe
	s_or_b32 exec_lo, exec_lo, s10
	s_delay_alu instid0(SALU_CYCLE_1)
	s_and_b32 s6, s6, exec_lo
                                        ; implicit-def: $vgpr130
	s_or_saveexec_b32 s7, s7
	v_mov_b32_e32 v147, 0x7c01
	s_wait_alu 0xfffe
	s_xor_b32 exec_lo, exec_lo, s7
	s_cbranch_execz .LBB3_164
.LBB3_292:                              ;   in Loop: Header=BB3_150 Depth=1
	v_cmp_ne_u16_e64 vcc_lo, 0, v130
	v_mov_b32_e32 v147, 0
	s_and_not1_b32 s6, s6, exec_lo
	s_and_b32 s10, vcc_lo, exec_lo
	s_wait_alu 0xfffe
	s_or_b32 s6, s6, s10
	s_or_b32 exec_lo, exec_lo, s7
	s_wait_alu 0xfffe
	s_and_saveexec_b32 s7, s6
	s_cbranch_execnz .LBB3_165
	s_branch .LBB3_166
.LBB3_293:                              ;   in Loop: Header=BB3_150 Depth=1
	s_mov_b32 s6, -1
	s_mov_b32 s10, exec_lo
	v_cmpx_eq_u16_e64 0x80, v130
; %bb.294:                              ;   in Loop: Header=BB3_150 Depth=1
	s_xor_b32 s6, exec_lo, -1
; %bb.295:                              ;   in Loop: Header=BB3_150 Depth=1
	s_wait_alu 0xfffe
	s_or_b32 exec_lo, exec_lo, s10
	s_delay_alu instid0(SALU_CYCLE_1)
	s_and_b32 s6, s6, exec_lo
                                        ; implicit-def: $vgpr130
	s_or_saveexec_b32 s7, s7
	v_mov_b32_e32 v148, 0x7c01
	s_wait_alu 0xfffe
	s_xor_b32 exec_lo, exec_lo, s7
	s_cbranch_execz .LBB3_168
.LBB3_296:                              ;   in Loop: Header=BB3_150 Depth=1
	v_cmp_ne_u16_e64 vcc_lo, 0, v130
	v_mov_b32_e32 v148, 0
	s_and_not1_b32 s6, s6, exec_lo
	s_and_b32 s10, vcc_lo, exec_lo
	s_wait_alu 0xfffe
	s_or_b32 s6, s6, s10
	s_or_b32 exec_lo, exec_lo, s7
	s_wait_alu 0xfffe
	s_and_saveexec_b32 s7, s6
	s_cbranch_execnz .LBB3_169
	s_branch .LBB3_170
.LBB3_297:                              ;   in Loop: Header=BB3_150 Depth=1
	s_mov_b32 s6, -1
	s_mov_b32 s10, exec_lo
	v_cmpx_eq_u16_e64 0x80, v130
; %bb.298:                              ;   in Loop: Header=BB3_150 Depth=1
	s_xor_b32 s6, exec_lo, -1
; %bb.299:                              ;   in Loop: Header=BB3_150 Depth=1
	s_wait_alu 0xfffe
	s_or_b32 exec_lo, exec_lo, s10
	s_delay_alu instid0(SALU_CYCLE_1)
	s_and_b32 s6, s6, exec_lo
                                        ; implicit-def: $vgpr130
	s_or_saveexec_b32 s7, s7
	v_mov_b32_e32 v149, 0x7c01
	s_wait_alu 0xfffe
	s_xor_b32 exec_lo, exec_lo, s7
	s_cbranch_execz .LBB3_172
.LBB3_300:                              ;   in Loop: Header=BB3_150 Depth=1
	v_cmp_ne_u16_e64 vcc_lo, 0, v130
	v_mov_b32_e32 v149, 0
	s_and_not1_b32 s6, s6, exec_lo
	s_and_b32 s10, vcc_lo, exec_lo
	s_wait_alu 0xfffe
	s_or_b32 s6, s6, s10
	s_or_b32 exec_lo, exec_lo, s7
	s_wait_alu 0xfffe
	s_and_saveexec_b32 s7, s6
	s_cbranch_execnz .LBB3_173
	s_branch .LBB3_174
.LBB3_301:                              ;   in Loop: Header=BB3_150 Depth=1
	s_mov_b32 s6, -1
	s_mov_b32 s10, exec_lo
	v_cmpx_eq_u16_e64 0x80, v130
; %bb.302:                              ;   in Loop: Header=BB3_150 Depth=1
	s_xor_b32 s6, exec_lo, -1
; %bb.303:                              ;   in Loop: Header=BB3_150 Depth=1
	s_wait_alu 0xfffe
	s_or_b32 exec_lo, exec_lo, s10
	s_delay_alu instid0(SALU_CYCLE_1)
	s_and_b32 s6, s6, exec_lo
                                        ; implicit-def: $vgpr130
	s_or_saveexec_b32 s7, s7
	v_mov_b32_e32 v150, 0x7c01
	s_wait_alu 0xfffe
	s_xor_b32 exec_lo, exec_lo, s7
	s_cbranch_execz .LBB3_176
.LBB3_304:                              ;   in Loop: Header=BB3_150 Depth=1
	v_cmp_ne_u16_e64 vcc_lo, 0, v130
	v_mov_b32_e32 v150, 0
	s_and_not1_b32 s6, s6, exec_lo
	s_and_b32 s10, vcc_lo, exec_lo
	s_wait_alu 0xfffe
	s_or_b32 s6, s6, s10
	s_or_b32 exec_lo, exec_lo, s7
	s_wait_alu 0xfffe
	s_and_saveexec_b32 s7, s6
	s_cbranch_execnz .LBB3_177
	s_branch .LBB3_178
.LBB3_305:                              ;   in Loop: Header=BB3_150 Depth=1
	s_mov_b32 s7, -1
	s_mov_b32 s10, exec_lo
	v_cmpx_eq_u16_e64 0x80, v133
; %bb.306:                              ;   in Loop: Header=BB3_150 Depth=1
	s_xor_b32 s7, exec_lo, -1
; %bb.307:                              ;   in Loop: Header=BB3_150 Depth=1
	s_wait_alu 0xfffe
	s_or_b32 exec_lo, exec_lo, s10
	s_delay_alu instid0(SALU_CYCLE_1)
	s_and_b32 s7, s7, exec_lo
	s_or_saveexec_b32 s6, s6
	v_mov_b32_e32 v155, 0x7c01
	s_wait_alu 0xfffe
	s_xor_b32 exec_lo, exec_lo, s6
	s_cbranch_execz .LBB3_180
.LBB3_308:                              ;   in Loop: Header=BB3_150 Depth=1
	v_cmp_ne_u16_e64 vcc_lo, 0, v133
	v_mov_b32_e32 v155, 0
	s_and_not1_b32 s7, s7, exec_lo
	s_and_b32 s10, vcc_lo, exec_lo
	s_wait_alu 0xfffe
	s_or_b32 s7, s7, s10
	s_or_b32 exec_lo, exec_lo, s6
	s_wait_alu 0xfffe
	s_and_saveexec_b32 s6, s7
	s_cbranch_execnz .LBB3_181
	s_branch .LBB3_182
.LBB3_309:                              ;   in Loop: Header=BB3_150 Depth=1
	s_mov_b32 s6, -1
	s_mov_b32 s10, exec_lo
	v_cmpx_eq_u16_e64 0x80, v132
; %bb.310:                              ;   in Loop: Header=BB3_150 Depth=1
	s_xor_b32 s6, exec_lo, -1
; %bb.311:                              ;   in Loop: Header=BB3_150 Depth=1
	s_wait_alu 0xfffe
	s_or_b32 exec_lo, exec_lo, s10
	s_delay_alu instid0(SALU_CYCLE_1)
	s_and_b32 s6, s6, exec_lo
                                        ; implicit-def: $vgpr132
	s_or_saveexec_b32 s7, s7
	v_mov_b32_e32 v151, 0x7c01
	s_wait_alu 0xfffe
	s_xor_b32 exec_lo, exec_lo, s7
	s_cbranch_execz .LBB3_184
.LBB3_312:                              ;   in Loop: Header=BB3_150 Depth=1
	v_cmp_ne_u16_e64 vcc_lo, 0, v132
	v_mov_b32_e32 v151, 0
	s_and_not1_b32 s6, s6, exec_lo
	s_and_b32 s10, vcc_lo, exec_lo
	s_wait_alu 0xfffe
	s_or_b32 s6, s6, s10
	s_or_b32 exec_lo, exec_lo, s7
	s_wait_alu 0xfffe
	s_and_saveexec_b32 s7, s6
	s_cbranch_execnz .LBB3_185
	s_branch .LBB3_186
.LBB3_313:                              ;   in Loop: Header=BB3_150 Depth=1
	s_mov_b32 s6, -1
	s_mov_b32 s10, exec_lo
	v_cmpx_eq_u16_e64 0x80, v133
; %bb.314:                              ;   in Loop: Header=BB3_150 Depth=1
	s_xor_b32 s6, exec_lo, -1
; %bb.315:                              ;   in Loop: Header=BB3_150 Depth=1
	s_wait_alu 0xfffe
	s_or_b32 exec_lo, exec_lo, s10
	s_delay_alu instid0(SALU_CYCLE_1)
	s_and_b32 s6, s6, exec_lo
                                        ; implicit-def: $vgpr133
	s_or_saveexec_b32 s7, s7
	v_mov_b32_e32 v156, 0x7c01
	s_wait_alu 0xfffe
	s_xor_b32 exec_lo, exec_lo, s7
	s_cbranch_execz .LBB3_188
.LBB3_316:                              ;   in Loop: Header=BB3_150 Depth=1
	v_cmp_ne_u16_e64 vcc_lo, 0, v133
	v_mov_b32_e32 v156, 0
	s_and_not1_b32 s6, s6, exec_lo
	s_and_b32 s10, vcc_lo, exec_lo
	s_wait_alu 0xfffe
	s_or_b32 s6, s6, s10
	s_or_b32 exec_lo, exec_lo, s7
	s_wait_alu 0xfffe
	s_and_saveexec_b32 s7, s6
	s_cbranch_execnz .LBB3_189
	s_branch .LBB3_190
.LBB3_317:                              ;   in Loop: Header=BB3_150 Depth=1
	s_mov_b32 s6, -1
	s_mov_b32 s10, exec_lo
	v_cmpx_eq_u16_e64 0x80, v158
; %bb.318:                              ;   in Loop: Header=BB3_150 Depth=1
	s_xor_b32 s6, exec_lo, -1
; %bb.319:                              ;   in Loop: Header=BB3_150 Depth=1
	s_wait_alu 0xfffe
	s_or_b32 exec_lo, exec_lo, s10
	s_delay_alu instid0(SALU_CYCLE_1)
	s_and_b32 s6, s6, exec_lo
                                        ; implicit-def: $vgpr158
	s_or_saveexec_b32 s7, s7
	v_mov_b32_e32 v157, 0x7c01
	s_wait_alu 0xfffe
	s_xor_b32 exec_lo, exec_lo, s7
	s_cbranch_execz .LBB3_192
.LBB3_320:                              ;   in Loop: Header=BB3_150 Depth=1
	v_cmp_ne_u16_e64 vcc_lo, 0, v158
	v_mov_b32_e32 v157, 0
	s_and_not1_b32 s6, s6, exec_lo
	s_and_b32 s10, vcc_lo, exec_lo
	s_wait_alu 0xfffe
	s_or_b32 s6, s6, s10
	s_or_b32 exec_lo, exec_lo, s7
	s_wait_alu 0xfffe
	s_and_saveexec_b32 s7, s6
	s_cbranch_execnz .LBB3_193
	s_branch .LBB3_194
.LBB3_321:                              ;   in Loop: Header=BB3_150 Depth=1
	s_mov_b32 s6, -1
	s_mov_b32 s10, exec_lo
	v_cmpx_eq_u16_e64 0x80, v130
; %bb.322:                              ;   in Loop: Header=BB3_150 Depth=1
	s_xor_b32 s6, exec_lo, -1
; %bb.323:                              ;   in Loop: Header=BB3_150 Depth=1
	s_wait_alu 0xfffe
	s_or_b32 exec_lo, exec_lo, s10
	s_delay_alu instid0(SALU_CYCLE_1)
	s_and_b32 s6, s6, exec_lo
                                        ; implicit-def: $vgpr130
	s_or_saveexec_b32 s7, s7
	v_mov_b32_e32 v158, 0x7c01
	s_wait_alu 0xfffe
	s_xor_b32 exec_lo, exec_lo, s7
	s_cbranch_execz .LBB3_196
.LBB3_324:                              ;   in Loop: Header=BB3_150 Depth=1
	v_cmp_ne_u16_e64 vcc_lo, 0, v130
	v_mov_b32_e32 v158, 0
	s_and_not1_b32 s6, s6, exec_lo
	s_and_b32 s10, vcc_lo, exec_lo
	s_wait_alu 0xfffe
	s_or_b32 s6, s6, s10
	s_or_b32 exec_lo, exec_lo, s7
	s_wait_alu 0xfffe
	s_and_saveexec_b32 s7, s6
	s_cbranch_execnz .LBB3_197
	s_branch .LBB3_198
.LBB3_325:                              ;   in Loop: Header=BB3_150 Depth=1
	s_mov_b32 s6, -1
	s_mov_b32 s10, exec_lo
	v_cmpx_eq_u16_e64 0x80, v130
; %bb.326:                              ;   in Loop: Header=BB3_150 Depth=1
	s_xor_b32 s6, exec_lo, -1
; %bb.327:                              ;   in Loop: Header=BB3_150 Depth=1
	s_wait_alu 0xfffe
	s_or_b32 exec_lo, exec_lo, s10
	s_delay_alu instid0(SALU_CYCLE_1)
	s_and_b32 s6, s6, exec_lo
                                        ; implicit-def: $vgpr130
	s_or_saveexec_b32 s7, s7
	v_mov_b32_e32 v159, 0x7c01
	s_wait_alu 0xfffe
	s_xor_b32 exec_lo, exec_lo, s7
	s_cbranch_execz .LBB3_200
.LBB3_328:                              ;   in Loop: Header=BB3_150 Depth=1
	v_cmp_ne_u16_e64 vcc_lo, 0, v130
	v_mov_b32_e32 v159, 0
	s_and_not1_b32 s6, s6, exec_lo
	s_and_b32 s10, vcc_lo, exec_lo
	s_wait_alu 0xfffe
	s_or_b32 s6, s6, s10
	s_or_b32 exec_lo, exec_lo, s7
	s_wait_alu 0xfffe
	s_and_saveexec_b32 s7, s6
	s_cbranch_execnz .LBB3_201
	s_branch .LBB3_202
.LBB3_329:                              ;   in Loop: Header=BB3_150 Depth=1
	s_mov_b32 s6, -1
	s_mov_b32 s10, exec_lo
	v_cmpx_eq_u16_e64 0x80, v130
; %bb.330:                              ;   in Loop: Header=BB3_150 Depth=1
	s_xor_b32 s6, exec_lo, -1
; %bb.331:                              ;   in Loop: Header=BB3_150 Depth=1
	s_wait_alu 0xfffe
	s_or_b32 exec_lo, exec_lo, s10
	s_delay_alu instid0(SALU_CYCLE_1)
	s_and_b32 s6, s6, exec_lo
                                        ; implicit-def: $vgpr130
	s_or_saveexec_b32 s7, s7
	v_mov_b32_e32 v160, 0x7c01
	s_wait_alu 0xfffe
	s_xor_b32 exec_lo, exec_lo, s7
	s_cbranch_execz .LBB3_204
.LBB3_332:                              ;   in Loop: Header=BB3_150 Depth=1
	v_cmp_ne_u16_e64 vcc_lo, 0, v130
	v_mov_b32_e32 v160, 0
	s_and_not1_b32 s6, s6, exec_lo
	s_and_b32 s10, vcc_lo, exec_lo
	s_wait_alu 0xfffe
	s_or_b32 s6, s6, s10
	s_or_b32 exec_lo, exec_lo, s7
	s_wait_alu 0xfffe
	s_and_saveexec_b32 s7, s6
	s_cbranch_execnz .LBB3_205
	s_branch .LBB3_206
.LBB3_333:                              ;   in Loop: Header=BB3_150 Depth=1
	s_mov_b32 s6, -1
	s_mov_b32 s10, exec_lo
	v_cmpx_eq_u16_e64 0x80, v130
; %bb.334:                              ;   in Loop: Header=BB3_150 Depth=1
	s_xor_b32 s6, exec_lo, -1
; %bb.335:                              ;   in Loop: Header=BB3_150 Depth=1
	s_wait_alu 0xfffe
	s_or_b32 exec_lo, exec_lo, s10
	s_delay_alu instid0(SALU_CYCLE_1)
	s_and_b32 s6, s6, exec_lo
                                        ; implicit-def: $vgpr130
	s_or_saveexec_b32 s7, s7
	v_mov_b32_e32 v162, 0x7c01
	s_wait_alu 0xfffe
	s_xor_b32 exec_lo, exec_lo, s7
	s_cbranch_execz .LBB3_208
.LBB3_336:                              ;   in Loop: Header=BB3_150 Depth=1
	v_cmp_ne_u16_e64 vcc_lo, 0, v130
	v_mov_b32_e32 v162, 0
	s_and_not1_b32 s6, s6, exec_lo
	s_and_b32 s10, vcc_lo, exec_lo
	s_wait_alu 0xfffe
	s_or_b32 s6, s6, s10
	s_or_b32 exec_lo, exec_lo, s7
	s_wait_alu 0xfffe
	s_and_saveexec_b32 s7, s6
	s_cbranch_execnz .LBB3_209
	s_branch .LBB3_210
.LBB3_337:                              ;   in Loop: Header=BB3_150 Depth=1
	s_mov_b32 s7, -1
	s_mov_b32 s10, exec_lo
	v_cmpx_eq_u16_e64 0x80, v133
; %bb.338:                              ;   in Loop: Header=BB3_150 Depth=1
	s_xor_b32 s7, exec_lo, -1
; %bb.339:                              ;   in Loop: Header=BB3_150 Depth=1
	s_wait_alu 0xfffe
	s_or_b32 exec_lo, exec_lo, s10
	s_delay_alu instid0(SALU_CYCLE_1)
	s_and_b32 s7, s7, exec_lo
	s_or_saveexec_b32 s6, s6
	v_mov_b32_e32 v164, 0x7c01
	s_wait_alu 0xfffe
	s_xor_b32 exec_lo, exec_lo, s6
	s_cbranch_execz .LBB3_212
.LBB3_340:                              ;   in Loop: Header=BB3_150 Depth=1
	v_cmp_ne_u16_e64 vcc_lo, 0, v133
	v_mov_b32_e32 v164, 0
	s_and_not1_b32 s7, s7, exec_lo
	s_and_b32 s10, vcc_lo, exec_lo
	s_wait_alu 0xfffe
	s_or_b32 s7, s7, s10
	s_or_b32 exec_lo, exec_lo, s6
	s_wait_alu 0xfffe
	s_and_saveexec_b32 s6, s7
	s_cbranch_execnz .LBB3_213
	s_branch .LBB3_214
.LBB3_341:                              ;   in Loop: Header=BB3_150 Depth=1
	s_mov_b32 s6, -1
	s_mov_b32 s10, exec_lo
	v_cmpx_eq_u16_e64 0x80, v132
; %bb.342:                              ;   in Loop: Header=BB3_150 Depth=1
	s_xor_b32 s6, exec_lo, -1
; %bb.343:                              ;   in Loop: Header=BB3_150 Depth=1
	s_wait_alu 0xfffe
	s_or_b32 exec_lo, exec_lo, s10
	s_delay_alu instid0(SALU_CYCLE_1)
	s_and_b32 s6, s6, exec_lo
                                        ; implicit-def: $vgpr132
	s_or_saveexec_b32 s7, s7
	v_mov_b32_e32 v161, 0x7c01
	s_wait_alu 0xfffe
	s_xor_b32 exec_lo, exec_lo, s7
	s_cbranch_execz .LBB3_216
.LBB3_344:                              ;   in Loop: Header=BB3_150 Depth=1
	v_cmp_ne_u16_e64 vcc_lo, 0, v132
	v_mov_b32_e32 v161, 0
	s_and_not1_b32 s6, s6, exec_lo
	s_and_b32 s10, vcc_lo, exec_lo
	s_wait_alu 0xfffe
	s_or_b32 s6, s6, s10
	s_or_b32 exec_lo, exec_lo, s7
	s_wait_alu 0xfffe
	s_and_saveexec_b32 s7, s6
	s_cbranch_execnz .LBB3_217
	s_branch .LBB3_218
.LBB3_345:                              ;   in Loop: Header=BB3_150 Depth=1
	s_mov_b32 s7, -1
	s_mov_b32 s10, exec_lo
	v_cmpx_eq_u16_e64 0x80, v133
; %bb.346:                              ;   in Loop: Header=BB3_150 Depth=1
	s_xor_b32 s7, exec_lo, -1
; %bb.347:                              ;   in Loop: Header=BB3_150 Depth=1
	s_wait_alu 0xfffe
	s_or_b32 exec_lo, exec_lo, s10
	s_delay_alu instid0(SALU_CYCLE_1)
	s_and_b32 s7, s7, exec_lo
                                        ; implicit-def: $vgpr133
	s_or_saveexec_b32 s6, s6
	v_mov_b32_e32 v163, 0x7c01
	s_wait_alu 0xfffe
	s_xor_b32 exec_lo, exec_lo, s6
	s_cbranch_execz .LBB3_220
.LBB3_348:                              ;   in Loop: Header=BB3_150 Depth=1
	v_cmp_ne_u16_e64 vcc_lo, 0, v133
	v_mov_b32_e32 v163, 0
	s_and_not1_b32 s7, s7, exec_lo
	s_and_b32 s10, vcc_lo, exec_lo
	s_wait_alu 0xfffe
	s_or_b32 s7, s7, s10
	s_or_b32 exec_lo, exec_lo, s6
	s_wait_alu 0xfffe
	s_and_saveexec_b32 s6, s7
	s_cbranch_execnz .LBB3_221
	s_branch .LBB3_222
.LBB3_349:                              ;   in Loop: Header=BB3_150 Depth=1
	s_mov_b32 s6, -1
	s_mov_b32 s10, exec_lo
	v_cmpx_eq_u16_e64 0x80, v166
; %bb.350:                              ;   in Loop: Header=BB3_150 Depth=1
	s_xor_b32 s6, exec_lo, -1
; %bb.351:                              ;   in Loop: Header=BB3_150 Depth=1
	s_wait_alu 0xfffe
	s_or_b32 exec_lo, exec_lo, s10
	s_delay_alu instid0(SALU_CYCLE_1)
	s_and_b32 s6, s6, exec_lo
                                        ; implicit-def: $vgpr166
	s_or_saveexec_b32 s7, s7
	v_mov_b32_e32 v165, 0x7c01
	s_wait_alu 0xfffe
	s_xor_b32 exec_lo, exec_lo, s7
	s_cbranch_execz .LBB3_224
.LBB3_352:                              ;   in Loop: Header=BB3_150 Depth=1
	v_cmp_ne_u16_e64 vcc_lo, 0, v166
	v_mov_b32_e32 v165, 0
	s_and_not1_b32 s6, s6, exec_lo
	s_and_b32 s10, vcc_lo, exec_lo
	s_wait_alu 0xfffe
	s_or_b32 s6, s6, s10
	s_or_b32 exec_lo, exec_lo, s7
	s_wait_alu 0xfffe
	s_and_saveexec_b32 s7, s6
	s_cbranch_execnz .LBB3_225
	s_branch .LBB3_226
.LBB3_353:                              ;   in Loop: Header=BB3_150 Depth=1
	s_mov_b32 s6, -1
	s_mov_b32 s10, exec_lo
	v_cmpx_eq_u16_e64 0x80, v130
; %bb.354:                              ;   in Loop: Header=BB3_150 Depth=1
	s_xor_b32 s6, exec_lo, -1
; %bb.355:                              ;   in Loop: Header=BB3_150 Depth=1
	s_wait_alu 0xfffe
	s_or_b32 exec_lo, exec_lo, s10
	s_delay_alu instid0(SALU_CYCLE_1)
	s_and_b32 s6, s6, exec_lo
                                        ; implicit-def: $vgpr130
	s_or_saveexec_b32 s7, s7
	v_mov_b32_e32 v166, 0x7c01
	s_wait_alu 0xfffe
	s_xor_b32 exec_lo, exec_lo, s7
	s_cbranch_execz .LBB3_228
.LBB3_356:                              ;   in Loop: Header=BB3_150 Depth=1
	v_cmp_ne_u16_e64 vcc_lo, 0, v130
	v_mov_b32_e32 v166, 0
	s_and_not1_b32 s6, s6, exec_lo
	s_and_b32 s10, vcc_lo, exec_lo
	s_wait_alu 0xfffe
	s_or_b32 s6, s6, s10
	s_or_b32 exec_lo, exec_lo, s7
	s_wait_alu 0xfffe
	s_and_saveexec_b32 s7, s6
	s_cbranch_execnz .LBB3_229
	s_branch .LBB3_230
.LBB3_357:                              ;   in Loop: Header=BB3_150 Depth=1
	s_mov_b32 s6, -1
	s_mov_b32 s10, exec_lo
	v_cmpx_eq_u16_e64 0x80, v130
; %bb.358:                              ;   in Loop: Header=BB3_150 Depth=1
	s_xor_b32 s6, exec_lo, -1
; %bb.359:                              ;   in Loop: Header=BB3_150 Depth=1
	s_wait_alu 0xfffe
	s_or_b32 exec_lo, exec_lo, s10
	s_delay_alu instid0(SALU_CYCLE_1)
	s_and_b32 s6, s6, exec_lo
                                        ; implicit-def: $vgpr130
	s_or_saveexec_b32 s7, s7
	v_mov_b32_e32 v167, 0x7c01
	s_wait_alu 0xfffe
	s_xor_b32 exec_lo, exec_lo, s7
	s_cbranch_execz .LBB3_232
.LBB3_360:                              ;   in Loop: Header=BB3_150 Depth=1
	v_cmp_ne_u16_e64 vcc_lo, 0, v130
	v_mov_b32_e32 v167, 0
	s_and_not1_b32 s6, s6, exec_lo
	s_and_b32 s10, vcc_lo, exec_lo
	s_wait_alu 0xfffe
	s_or_b32 s6, s6, s10
	s_or_b32 exec_lo, exec_lo, s7
	s_wait_alu 0xfffe
	s_and_saveexec_b32 s7, s6
	s_cbranch_execnz .LBB3_233
	s_branch .LBB3_234
.LBB3_361:                              ;   in Loop: Header=BB3_150 Depth=1
	s_mov_b32 s6, -1
	s_mov_b32 s10, exec_lo
	v_cmpx_eq_u16_e64 0x80, v130
; %bb.362:                              ;   in Loop: Header=BB3_150 Depth=1
	s_xor_b32 s6, exec_lo, -1
; %bb.363:                              ;   in Loop: Header=BB3_150 Depth=1
	s_wait_alu 0xfffe
	s_or_b32 exec_lo, exec_lo, s10
	s_delay_alu instid0(SALU_CYCLE_1)
	s_and_b32 s6, s6, exec_lo
                                        ; implicit-def: $vgpr130
	s_or_saveexec_b32 s7, s7
	v_mov_b32_e32 v168, 0x7c01
	s_wait_alu 0xfffe
	s_xor_b32 exec_lo, exec_lo, s7
	s_cbranch_execz .LBB3_236
.LBB3_364:                              ;   in Loop: Header=BB3_150 Depth=1
	v_cmp_ne_u16_e64 vcc_lo, 0, v130
	v_mov_b32_e32 v168, 0
	s_and_not1_b32 s6, s6, exec_lo
	s_and_b32 s10, vcc_lo, exec_lo
	s_wait_alu 0xfffe
	s_or_b32 s6, s6, s10
	s_or_b32 exec_lo, exec_lo, s7
	s_wait_alu 0xfffe
	s_and_saveexec_b32 s7, s6
	s_cbranch_execnz .LBB3_237
	s_branch .LBB3_238
.LBB3_365:                              ;   in Loop: Header=BB3_150 Depth=1
	s_mov_b32 s6, -1
	s_mov_b32 s10, exec_lo
	v_cmpx_eq_u16_e64 0x80, v130
; %bb.366:                              ;   in Loop: Header=BB3_150 Depth=1
	s_xor_b32 s6, exec_lo, -1
; %bb.367:                              ;   in Loop: Header=BB3_150 Depth=1
	s_wait_alu 0xfffe
	s_or_b32 exec_lo, exec_lo, s10
	s_delay_alu instid0(SALU_CYCLE_1)
	s_and_b32 s6, s6, exec_lo
                                        ; implicit-def: $vgpr130
	s_or_saveexec_b32 s7, s7
	v_mov_b32_e32 v169, 0x7c01
	s_wait_alu 0xfffe
	s_xor_b32 exec_lo, exec_lo, s7
	s_cbranch_execz .LBB3_240
.LBB3_368:                              ;   in Loop: Header=BB3_150 Depth=1
	v_cmp_ne_u16_e64 vcc_lo, 0, v130
	v_mov_b32_e32 v169, 0
	s_and_not1_b32 s6, s6, exec_lo
	s_and_b32 s10, vcc_lo, exec_lo
	s_wait_alu 0xfffe
	s_or_b32 s6, s6, s10
	s_or_b32 exec_lo, exec_lo, s7
	s_wait_alu 0xfffe
	s_and_saveexec_b32 s7, s6
	s_cbranch_execnz .LBB3_241
	s_branch .LBB3_242
.LBB3_369:                              ;   in Loop: Header=BB3_150 Depth=1
	s_mov_b32 s7, -1
	s_mov_b32 s10, exec_lo
	v_cmpx_eq_u16_e64 0x80, v133
; %bb.370:                              ;   in Loop: Header=BB3_150 Depth=1
	s_xor_b32 s7, exec_lo, -1
; %bb.371:                              ;   in Loop: Header=BB3_150 Depth=1
	s_wait_alu 0xfffe
	s_or_b32 exec_lo, exec_lo, s10
	s_delay_alu instid0(SALU_CYCLE_1)
	s_and_b32 s7, s7, exec_lo
	s_or_saveexec_b32 s6, s6
	v_mov_b32_e32 v170, 0x7c01
	s_wait_alu 0xfffe
	s_xor_b32 exec_lo, exec_lo, s6
	s_cbranch_execz .LBB3_244
.LBB3_372:                              ;   in Loop: Header=BB3_150 Depth=1
	v_cmp_ne_u16_e64 vcc_lo, 0, v133
	v_mov_b32_e32 v170, 0
	s_and_not1_b32 s7, s7, exec_lo
	s_and_b32 s10, vcc_lo, exec_lo
	s_wait_alu 0xfffe
	s_or_b32 s7, s7, s10
	s_or_b32 exec_lo, exec_lo, s6
	s_wait_alu 0xfffe
	s_and_saveexec_b32 s6, s7
	s_cbranch_execnz .LBB3_245
	s_branch .LBB3_246
.LBB3_373:                              ;   in Loop: Header=BB3_150 Depth=1
	s_mov_b32 s6, -1
	s_mov_b32 s10, exec_lo
	v_cmpx_eq_u16_e64 0x80, v132
; %bb.374:                              ;   in Loop: Header=BB3_150 Depth=1
	s_xor_b32 s6, exec_lo, -1
; %bb.375:                              ;   in Loop: Header=BB3_150 Depth=1
	s_wait_alu 0xfffe
	s_or_b32 exec_lo, exec_lo, s10
	s_delay_alu instid0(SALU_CYCLE_1)
	s_and_b32 s6, s6, exec_lo
                                        ; implicit-def: $vgpr132
	s_or_saveexec_b32 s7, s7
	v_mov_b32_e32 v171, 0x7c01
	s_wait_alu 0xfffe
	s_xor_b32 exec_lo, exec_lo, s7
	s_cbranch_execz .LBB3_248
.LBB3_376:                              ;   in Loop: Header=BB3_150 Depth=1
	v_cmp_ne_u16_e64 vcc_lo, 0, v132
	v_mov_b32_e32 v171, 0
	s_and_not1_b32 s6, s6, exec_lo
	s_and_b32 s10, vcc_lo, exec_lo
	s_wait_alu 0xfffe
	s_or_b32 s6, s6, s10
	s_or_b32 exec_lo, exec_lo, s7
	s_wait_alu 0xfffe
	s_and_saveexec_b32 s7, s6
	s_cbranch_execnz .LBB3_249
	s_branch .LBB3_250
.LBB3_377:                              ;   in Loop: Header=BB3_150 Depth=1
	s_mov_b32 s6, -1
	s_mov_b32 s10, exec_lo
	v_cmpx_eq_u16_e64 0x80, v133
; %bb.378:                              ;   in Loop: Header=BB3_150 Depth=1
	s_xor_b32 s6, exec_lo, -1
; %bb.379:                              ;   in Loop: Header=BB3_150 Depth=1
	s_wait_alu 0xfffe
	s_or_b32 exec_lo, exec_lo, s10
	s_delay_alu instid0(SALU_CYCLE_1)
	s_and_b32 s6, s6, exec_lo
                                        ; implicit-def: $vgpr133
	s_or_saveexec_b32 s7, s7
	v_mov_b32_e32 v172, 0x7c01
	s_wait_alu 0xfffe
	s_xor_b32 exec_lo, exec_lo, s7
	s_cbranch_execz .LBB3_252
.LBB3_380:                              ;   in Loop: Header=BB3_150 Depth=1
	v_cmp_ne_u16_e64 vcc_lo, 0, v133
	v_mov_b32_e32 v172, 0
	s_and_not1_b32 s6, s6, exec_lo
	s_and_b32 s10, vcc_lo, exec_lo
	s_wait_alu 0xfffe
	s_or_b32 s6, s6, s10
	s_or_b32 exec_lo, exec_lo, s7
	s_wait_alu 0xfffe
	s_and_saveexec_b32 s7, s6
	s_cbranch_execnz .LBB3_253
	s_branch .LBB3_254
.LBB3_381:                              ;   in Loop: Header=BB3_150 Depth=1
	s_mov_b32 s6, -1
	s_mov_b32 s10, exec_lo
	v_cmpx_eq_u16_e64 0x80, v176
; %bb.382:                              ;   in Loop: Header=BB3_150 Depth=1
	s_xor_b32 s6, exec_lo, -1
; %bb.383:                              ;   in Loop: Header=BB3_150 Depth=1
	s_wait_alu 0xfffe
	s_or_b32 exec_lo, exec_lo, s10
	s_delay_alu instid0(SALU_CYCLE_1)
	s_and_b32 s6, s6, exec_lo
                                        ; implicit-def: $vgpr176
	s_or_saveexec_b32 s7, s7
	v_mov_b32_e32 v130, 0x7c01
	s_wait_alu 0xfffe
	s_xor_b32 exec_lo, exec_lo, s7
	s_cbranch_execz .LBB3_256
.LBB3_384:                              ;   in Loop: Header=BB3_150 Depth=1
	v_cmp_ne_u16_e64 vcc_lo, 0, v176
	v_mov_b32_e32 v130, 0
	s_and_not1_b32 s6, s6, exec_lo
	s_and_b32 s10, vcc_lo, exec_lo
	s_wait_alu 0xfffe
	s_or_b32 s6, s6, s10
	s_or_b32 exec_lo, exec_lo, s7
	s_wait_alu 0xfffe
	s_and_saveexec_b32 s7, s6
	s_cbranch_execnz .LBB3_257
	s_branch .LBB3_258
.LBB3_385:                              ;   in Loop: Header=BB3_150 Depth=1
	s_mov_b32 s6, -1
	s_mov_b32 s10, exec_lo
	v_cmpx_eq_u16_e64 0x80, v176
; %bb.386:                              ;   in Loop: Header=BB3_150 Depth=1
	s_xor_b32 s6, exec_lo, -1
; %bb.387:                              ;   in Loop: Header=BB3_150 Depth=1
	s_wait_alu 0xfffe
	s_or_b32 exec_lo, exec_lo, s10
	s_delay_alu instid0(SALU_CYCLE_1)
	s_and_b32 s6, s6, exec_lo
                                        ; implicit-def: $vgpr176
	s_or_saveexec_b32 s7, s7
	v_mov_b32_e32 v133, 0x7c01
	s_wait_alu 0xfffe
	s_xor_b32 exec_lo, exec_lo, s7
	s_cbranch_execz .LBB3_260
.LBB3_388:                              ;   in Loop: Header=BB3_150 Depth=1
	v_cmp_ne_u16_e64 vcc_lo, 0, v176
	v_mov_b32_e32 v133, 0
	s_and_not1_b32 s6, s6, exec_lo
	s_and_b32 s10, vcc_lo, exec_lo
	s_wait_alu 0xfffe
	s_or_b32 s6, s6, s10
	s_or_b32 exec_lo, exec_lo, s7
	s_wait_alu 0xfffe
	s_and_saveexec_b32 s7, s6
	s_cbranch_execnz .LBB3_261
	s_branch .LBB3_262
.LBB3_389:                              ;   in Loop: Header=BB3_150 Depth=1
	s_mov_b32 s6, -1
	s_mov_b32 s10, exec_lo
	v_cmpx_eq_u16_e64 0x80, v176
; %bb.390:                              ;   in Loop: Header=BB3_150 Depth=1
	s_xor_b32 s6, exec_lo, -1
; %bb.391:                              ;   in Loop: Header=BB3_150 Depth=1
	s_wait_alu 0xfffe
	s_or_b32 exec_lo, exec_lo, s10
	s_delay_alu instid0(SALU_CYCLE_1)
	s_and_b32 s6, s6, exec_lo
                                        ; implicit-def: $vgpr176
	s_or_saveexec_b32 s7, s7
	v_mov_b32_e32 v132, 0x7c01
	s_wait_alu 0xfffe
	s_xor_b32 exec_lo, exec_lo, s7
	s_cbranch_execz .LBB3_264
.LBB3_392:                              ;   in Loop: Header=BB3_150 Depth=1
	v_cmp_ne_u16_e64 vcc_lo, 0, v176
	v_mov_b32_e32 v132, 0
	s_and_not1_b32 s6, s6, exec_lo
	s_and_b32 s10, vcc_lo, exec_lo
	s_wait_alu 0xfffe
	s_or_b32 s6, s6, s10
	s_or_b32 exec_lo, exec_lo, s7
	s_wait_alu 0xfffe
	s_and_saveexec_b32 s7, s6
	s_cbranch_execnz .LBB3_265
	s_branch .LBB3_266
.LBB3_393:                              ;   in Loop: Header=BB3_150 Depth=1
	s_mov_b32 s6, -1
	s_mov_b32 s10, exec_lo
	v_cmpx_eq_u16_e64 0x80, v176
; %bb.394:                              ;   in Loop: Header=BB3_150 Depth=1
	s_xor_b32 s6, exec_lo, -1
; %bb.395:                              ;   in Loop: Header=BB3_150 Depth=1
	s_wait_alu 0xfffe
	s_or_b32 exec_lo, exec_lo, s10
	s_delay_alu instid0(SALU_CYCLE_1)
	s_and_b32 s6, s6, exec_lo
                                        ; implicit-def: $vgpr176
	s_or_saveexec_b32 s7, s7
	v_mov_b32_e32 v131, 0x7c01
	s_wait_alu 0xfffe
	s_xor_b32 exec_lo, exec_lo, s7
	s_cbranch_execz .LBB3_268
.LBB3_396:                              ;   in Loop: Header=BB3_150 Depth=1
	v_cmp_ne_u16_e64 vcc_lo, 0, v176
	v_mov_b32_e32 v131, 0
	s_and_not1_b32 s6, s6, exec_lo
	s_and_b32 s10, vcc_lo, exec_lo
	s_wait_alu 0xfffe
	s_or_b32 s6, s6, s10
	s_or_b32 exec_lo, exec_lo, s7
	s_wait_alu 0xfffe
	s_and_saveexec_b32 s7, s6
	s_cbranch_execnz .LBB3_269
	s_branch .LBB3_270
.LBB3_397:                              ;   in Loop: Header=BB3_150 Depth=1
	s_mov_b32 s6, -1
	s_mov_b32 s10, exec_lo
	v_cmpx_eq_u16_e64 0x80, v176
; %bb.398:                              ;   in Loop: Header=BB3_150 Depth=1
	s_xor_b32 s6, exec_lo, -1
; %bb.399:                              ;   in Loop: Header=BB3_150 Depth=1
	s_wait_alu 0xfffe
	s_or_b32 exec_lo, exec_lo, s10
	s_delay_alu instid0(SALU_CYCLE_1)
	s_and_b32 s6, s6, exec_lo
                                        ; implicit-def: $vgpr176
	s_or_saveexec_b32 s7, s7
	v_mov_b32_e32 v174, 0x7c01
	s_wait_alu 0xfffe
	s_xor_b32 exec_lo, exec_lo, s7
	s_cbranch_execz .LBB3_272
.LBB3_400:                              ;   in Loop: Header=BB3_150 Depth=1
	v_cmp_ne_u16_e64 vcc_lo, 0, v176
	v_mov_b32_e32 v174, 0
	s_and_not1_b32 s6, s6, exec_lo
	s_and_b32 s10, vcc_lo, exec_lo
	s_wait_alu 0xfffe
	s_or_b32 s6, s6, s10
	s_or_b32 exec_lo, exec_lo, s7
	s_wait_alu 0xfffe
	s_and_saveexec_b32 s7, s6
	s_cbranch_execnz .LBB3_273
	s_branch .LBB3_274
.LBB3_401:                              ;   in Loop: Header=BB3_150 Depth=1
	s_mov_b32 s7, -1
	s_mov_b32 s10, exec_lo
	v_cmpx_eq_u16_e64 0x80, v173
; %bb.402:                              ;   in Loop: Header=BB3_150 Depth=1
	s_xor_b32 s7, exec_lo, -1
; %bb.403:                              ;   in Loop: Header=BB3_150 Depth=1
	s_wait_alu 0xfffe
	s_or_b32 exec_lo, exec_lo, s10
	s_delay_alu instid0(SALU_CYCLE_1)
	s_and_b32 s7, s7, exec_lo
	s_or_saveexec_b32 s6, s6
	v_mov_b32_e32 v175, 0x7c01
	s_wait_alu 0xfffe
	s_xor_b32 exec_lo, exec_lo, s6
	s_cbranch_execz .LBB3_276
.LBB3_404:                              ;   in Loop: Header=BB3_150 Depth=1
	v_cmp_ne_u16_e64 vcc_lo, 0, v173
	v_mov_b32_e32 v175, 0
	s_and_not1_b32 s7, s7, exec_lo
	s_and_b32 s10, vcc_lo, exec_lo
	s_wait_alu 0xfffe
	s_or_b32 s7, s7, s10
	s_or_b32 exec_lo, exec_lo, s6
	s_wait_alu 0xfffe
	s_and_saveexec_b32 s6, s7
	s_cbranch_execz .LBB3_149
.LBB3_405:                              ;   in Loop: Header=BB3_150 Depth=1
	v_lshrrev_b16 v177, 3, v173
	s_delay_alu instid0(VALU_DEP_1) | instskip(NEXT) | instid1(VALU_DEP_1)
	v_and_b32_e32 v177, 15, v177
	v_and_b32_e32 v179, 0xffff, v177
	v_cmp_eq_u16_e64 vcc_lo, 0, v177
	v_and_b32_e32 v175, 7, v173
	v_lshrrev_b16 v173, 7, v173
	s_delay_alu instid0(VALU_DEP_2) | instskip(NEXT) | instid1(VALU_DEP_2)
	v_clz_i32_u32_e32 v176, v175
	v_lshlrev_b32_e32 v173, 15, v173
	s_delay_alu instid0(VALU_DEP_2) | instskip(NEXT) | instid1(VALU_DEP_1)
	v_min_u32_e32 v176, 32, v176
	v_subrev_nc_u32_e32 v178, 28, v176
	v_sub_nc_u32_e32 v176, 29, v176
	s_wait_alu 0xfffd
	s_delay_alu instid0(VALU_DEP_1) | instskip(NEXT) | instid1(VALU_DEP_3)
	v_cndmask_b32_e32 v176, v179, v176, vcc_lo
	v_lshlrev_b32_e32 v178, v178, v175
	s_delay_alu instid0(VALU_DEP_2) | instskip(NEXT) | instid1(VALU_DEP_2)
	v_lshl_add_u32 v176, v176, 10, 0x1c00
	v_and_b32_e32 v178, 7, v178
	s_delay_alu instid0(VALU_DEP_1) | instskip(NEXT) | instid1(VALU_DEP_1)
	v_cndmask_b32_e32 v175, v175, v178, vcc_lo
	v_lshlrev_b32_e32 v175, 7, v175
	s_delay_alu instid0(VALU_DEP_1)
	v_or3_b32 v175, v173, v176, v175
	s_branch .LBB3_149
.LBB3_406:
	s_wait_dscnt 0x0
	s_barrier_signal -1
	s_barrier_wait -1
	ds_load_b128 v[155:158], v154
	ds_load_b128 v[132:135], v138 offset:16432
	ds_load_b128 v[159:162], v154 offset:4112
	;; [unrolled: 1-line block ×9, first 2 shown]
	v_and_b32_e32 v146, 8, v144
	v_and_b32_e32 v144, 48, v144
	;; [unrolled: 1-line block ×3, first 2 shown]
	v_lshlrev_b32_e32 v203, 1, v145
	ds_load_b128 v[179:182], v154 offset:5136
	ds_load_b128 v[183:186], v154 offset:5648
	ds_load_b128 v[187:190], v154 offset:2048
	ds_load_b128 v[191:194], v154 offset:2560
	v_and_or_b32 v146, v152, 16, v146
	v_lshlrev_b32_e32 v204, 1, v144
	v_lshlrev_b32_e32 v212, 1, v207
	ds_load_b128 v[195:198], v154 offset:6160
	ds_load_b128 v[199:202], v154 offset:6672
	v_lshl_or_b32 v207, s26, 7, v207
	v_lshlrev_b32_e32 v205, 7, v146
	s_wait_dscnt 0xe
	v_wmma_f32_16x16x16_f16 v[120:127], v[155:158], v[132:135], v[120:127]
	ds_load_b128 v[148:151], v154 offset:3072
	ds_load_b128 v[144:147], v154 offset:3584
	s_mov_b32 s7, 0
	s_wait_dscnt 0xd
	v_wmma_f32_16x16x16_f16 v[112:119], v[155:158], v[140:143], v[112:119]
	v_or3_b32 v153, v204, v205, v203
	v_wmma_f32_16x16x16_f16 v[120:127], v[159:162], v[128:131], v[120:127]
	s_mov_b32 s6, s25
	s_wait_kmcnt 0x0
	s_and_b32 s1, s1, 0xffff
	s_wait_dscnt 0xc
	v_wmma_f32_16x16x16_f16 v[112:119], v[159:162], v[136:139], v[112:119]
	s_wait_alu 0xfffe
	s_mul_u64 s[2:3], s[2:3], s[6:7]
	v_cvt_f16_f32_e64 v206, v120
	v_cvt_f16_f32_e64 v203, v121
	;; [unrolled: 1-line block ×8, first 2 shown]
	ds_load_b128 v[124:127], v154 offset:7184
	ds_load_b128 v[120:123], v154 offset:7696
	v_lshl_or_b32 v154, v152, 7, v212
	s_wait_dscnt 0x0
	s_barrier_signal -1
	s_barrier_wait -1
	ds_store_b16 v153, v206
	ds_store_b16 v153, v203 offset:128
	ds_store_b16 v153, v204 offset:256
	;; [unrolled: 1-line block ×7, first 2 shown]
	s_wait_dscnt 0x0
	s_barrier_signal -1
	s_barrier_wait -1
	ds_load_b128 v[203:206], v154
	v_lshl_or_b32 v152, s27, 8, v152
	v_cvt_f16_f32_e32 v112, v112
	s_add_co_i32 s2, s5, s3
	v_cvt_f16_f32_e32 v113, v113
	v_cvt_f16_f32_e32 v114, v114
	v_mad_co_u64_u32 v[207:208], null, v152, s25, v[207:208]
	s_lshl_b32 s2, s2, 1
	s_mov_b32 s3, 0x31004000
	v_cvt_f16_f32_e32 v115, v115
	v_cvt_f16_f32_e32 v116, v116
	;; [unrolled: 1-line block ×4, first 2 shown]
	v_lshlrev_b32_e32 v152, 1, v207
	v_cvt_f16_f32_e32 v119, v119
	v_wmma_f32_16x16x16_f16 v[104:111], v[163:166], v[140:143], v[104:111]
	v_wmma_f32_16x16x16_f16 v[96:103], v[163:166], v[132:135], v[96:103]
	s_lshl_b32 s4, s25, 5
	v_wmma_f32_16x16x16_f16 v[88:95], v[171:174], v[132:135], v[88:95]
	s_wait_dscnt 0x0
	buffer_store_b128 v[203:206], v152, s[0:3], null offen
	s_wait_dscnt 0x0
	s_barrier_signal -1
	s_barrier_wait -1
	ds_store_b16 v153, v112
	ds_store_b16 v153, v113 offset:128
	ds_store_b16 v153, v114 offset:256
	;; [unrolled: 1-line block ×7, first 2 shown]
	s_wait_dscnt 0x0
	s_barrier_signal -1
	s_barrier_wait -1
	ds_load_b128 v[112:115], v154
	v_add_nc_u32_e32 v116, 64, v207
	v_wmma_f32_16x16x16_f16 v[104:111], v[167:170], v[136:139], v[104:111]
	v_wmma_f32_16x16x16_f16 v[96:103], v[167:170], v[128:131], v[96:103]
	;; [unrolled: 1-line block ×4, first 2 shown]
	v_lshlrev_b32_e32 v117, 1, v116
	v_cvt_f16_f32_e32 v104, v104
	v_cvt_f16_f32_e32 v105, v105
	v_cvt_f16_f32_e32 v106, v106
	v_cvt_f16_f32_e32 v107, v107
	v_cvt_f16_f32_e32 v108, v108
	s_wait_dscnt 0x0
	s_clause 0x1
	buffer_store_b64 v[112:113], v117, s[0:3], null offen
	buffer_store_b64 v[114:115], v152, s[0:3], null offen offset:136
	s_wait_dscnt 0x0
	s_barrier_signal -1
	s_barrier_wait -1
	v_cvt_f16_f32_e32 v109, v109
	v_cvt_f16_f32_e32 v110, v110
	;; [unrolled: 1-line block ×3, first 2 shown]
	ds_store_b16 v153, v104
	ds_store_b16 v153, v105 offset:128
	ds_store_b16 v153, v106 offset:256
	;; [unrolled: 1-line block ×7, first 2 shown]
	s_wait_dscnt 0x0
	s_barrier_signal -1
	s_barrier_wait -1
	ds_load_b128 v[104:107], v154
	v_add_lshl_u32 v108, v116, s4, 1
	v_cvt_f16_f32_e32 v96, v96
	v_cvt_f16_f32_e32 v97, v97
	;; [unrolled: 1-line block ×16, first 2 shown]
	v_wmma_f32_16x16x16_f16 v[80:87], v[179:182], v[136:139], v[80:87]
	v_wmma_f32_16x16x16_f16 v[72:79], v[175:178], v[140:143], v[72:79]
	s_wait_dscnt 0x0
	buffer_store_b128 v[104:107], v108, s[0:3], null offen
	s_wait_dscnt 0x0
	s_barrier_signal -1
	s_barrier_wait -1
	ds_store_b16 v153, v96
	ds_store_b16 v153, v97 offset:128
	ds_store_b16 v153, v98 offset:256
	;; [unrolled: 1-line block ×7, first 2 shown]
	s_wait_dscnt 0x0
	s_barrier_signal -1
	s_barrier_wait -1
	ds_load_b128 v[96:99], v154
	v_add_nc_u32_e32 v100, s4, v207
	v_cvt_f16_f32_e32 v80, v80
	v_cvt_f16_f32_e32 v81, v81
	;; [unrolled: 1-line block ×4, first 2 shown]
	v_lshlrev_b32_e32 v101, 1, v100
	v_cvt_f16_f32_e32 v84, v84
	v_cvt_f16_f32_e32 v85, v85
	;; [unrolled: 1-line block ×4, first 2 shown]
	v_wmma_f32_16x16x16_f16 v[72:79], v[183:186], v[136:139], v[72:79]
	v_wmma_f32_16x16x16_f16 v[64:71], v[175:178], v[132:135], v[64:71]
	;; [unrolled: 1-line block ×5, first 2 shown]
	v_cvt_f16_f32_e32 v72, v72
	v_cvt_f16_f32_e32 v73, v73
	;; [unrolled: 1-line block ×4, first 2 shown]
	s_wait_dscnt 0x0
	buffer_store_b128 v[96:99], v101, s[0:3], null offen
	s_wait_dscnt 0x0
	s_barrier_signal -1
	s_barrier_wait -1
	ds_store_b16 v153, v88
	ds_store_b16 v153, v89 offset:128
	ds_store_b16 v153, v90 offset:256
	;; [unrolled: 1-line block ×7, first 2 shown]
	s_wait_dscnt 0x0
	s_barrier_signal -1
	s_barrier_wait -1
	ds_load_b128 v[88:91], v154
	v_add_nc_u32_e32 v92, s4, v100
	v_cvt_f16_f32_e32 v76, v76
	v_cvt_f16_f32_e32 v77, v77
	;; [unrolled: 1-line block ×4, first 2 shown]
	v_lshlrev_b32_e32 v93, 1, v92
	v_wmma_f32_16x16x16_f16 v[64:71], v[183:186], v[128:131], v[64:71]
	v_wmma_f32_16x16x16_f16 v[56:63], v[195:198], v[128:131], v[56:63]
	;; [unrolled: 1-line block ×5, first 2 shown]
	v_cvt_f16_f32_e32 v64, v64
	v_cvt_f16_f32_e32 v65, v65
	;; [unrolled: 1-line block ×8, first 2 shown]
	s_wait_dscnt 0x0
	buffer_store_b128 v[88:91], v93, s[0:3], null offen
	s_wait_dscnt 0x0
	s_barrier_signal -1
	s_barrier_wait -1
	ds_store_b16 v153, v80
	ds_store_b16 v153, v81 offset:128
	ds_store_b16 v153, v82 offset:256
	;; [unrolled: 1-line block ×7, first 2 shown]
	s_wait_dscnt 0x0
	s_barrier_signal -1
	s_barrier_wait -1
	ds_load_b128 v[80:83], v154
	v_add_nc_u32_e32 v84, 64, v92
	v_cvt_f16_f32_e32 v56, v56
	v_cvt_f16_f32_e32 v57, v57
	;; [unrolled: 1-line block ×4, first 2 shown]
	v_lshlrev_b32_e32 v85, 1, v84
	s_wait_dscnt 0x0
	s_clause 0x1
	buffer_store_b64 v[80:81], v85, s[0:3], null offen
	buffer_store_b64 v[82:83], v93, s[0:3], null offen offset:136
	s_wait_dscnt 0x0
	s_barrier_signal -1
	s_barrier_wait -1
	ds_store_b16 v153, v72
	ds_store_b16 v153, v73 offset:128
	ds_store_b16 v153, v74 offset:256
	ds_store_b16 v153, v75 offset:384
	ds_store_b16 v153, v76 offset:512
	ds_store_b16 v153, v77 offset:640
	ds_store_b16 v153, v78 offset:768
	ds_store_b16 v153, v79 offset:896
	s_wait_dscnt 0x0
	s_barrier_signal -1
	s_barrier_wait -1
	ds_load_b128 v[72:75], v154
	v_add_lshl_u32 v76, v84, s4, 1
	v_cvt_f16_f32_e32 v60, v60
	v_cvt_f16_f32_e32 v61, v61
	;; [unrolled: 1-line block ×18, first 2 shown]
	s_wait_dscnt 0x0
	buffer_store_b128 v[72:75], v76, s[0:3], null offen
	s_wait_dscnt 0x0
	s_barrier_signal -1
	s_barrier_wait -1
	ds_store_b16 v153, v64
	ds_store_b16 v153, v65 offset:128
	ds_store_b16 v153, v66 offset:256
	;; [unrolled: 1-line block ×7, first 2 shown]
	s_wait_dscnt 0x0
	s_barrier_signal -1
	s_barrier_wait -1
	ds_load_b128 v[64:67], v154
	v_add_nc_u32_e32 v68, s4, v92
	v_cvt_f16_f32_e32 v46, v46
	v_cvt_f16_f32_e32 v47, v47
	v_wmma_f32_16x16x16_f16 v[32:39], v[199:202], v[128:131], v[32:39]
	v_wmma_f32_16x16x16_f16 v[24:31], v[148:151], v[132:135], v[24:31]
	v_lshlrev_b32_e32 v69, 1, v68
	v_wmma_f32_16x16x16_f16 v[16:23], v[148:151], v[140:143], v[16:23]
	v_wmma_f32_16x16x16_f16 v[0:7], v[144:147], v[140:143], v[0:7]
	v_cvt_f16_f32_e32 v32, v32
	v_cvt_f16_f32_e32 v33, v33
	;; [unrolled: 1-line block ×8, first 2 shown]
	v_wmma_f32_16x16x16_f16 v[24:31], v[124:127], v[128:131], v[24:31]
	v_wmma_f32_16x16x16_f16 v[16:23], v[124:127], v[136:139], v[16:23]
	;; [unrolled: 1-line block ×3, first 2 shown]
	s_wait_dscnt 0x0
	buffer_store_b128 v[64:67], v69, s[0:3], null offen
	s_wait_dscnt 0x0
	s_barrier_signal -1
	s_barrier_wait -1
	ds_store_b16 v153, v56
	ds_store_b16 v153, v57 offset:128
	ds_store_b16 v153, v58 offset:256
	;; [unrolled: 1-line block ×7, first 2 shown]
	s_wait_dscnt 0x0
	s_barrier_signal -1
	s_barrier_wait -1
	ds_load_b128 v[56:59], v154
	v_add_nc_u32_e32 v60, s4, v68
	v_cvt_f16_f32_e32 v24, v24
	v_cvt_f16_f32_e32 v25, v25
	;; [unrolled: 1-line block ×4, first 2 shown]
	v_lshlrev_b32_e32 v61, 1, v60
	v_cvt_f16_f32_e32 v28, v28
	v_cvt_f16_f32_e32 v29, v29
	;; [unrolled: 1-line block ×13, first 2 shown]
	s_wait_dscnt 0x0
	buffer_store_b128 v[56:59], v61, s[0:3], null offen
	s_wait_dscnt 0x0
	s_barrier_signal -1
	s_barrier_wait -1
	ds_store_b16 v153, v48
	ds_store_b16 v153, v49 offset:128
	ds_store_b16 v153, v50 offset:256
	;; [unrolled: 1-line block ×7, first 2 shown]
	s_wait_dscnt 0x0
	s_barrier_signal -1
	s_barrier_wait -1
	ds_load_b128 v[48:51], v154
	v_add_nc_u32_e32 v52, 64, v60
	v_cvt_f16_f32_e32 v1, v1
	v_cvt_f16_f32_e32 v2, v2
	;; [unrolled: 1-line block ×4, first 2 shown]
	v_lshlrev_b32_e32 v53, 1, v52
	s_wait_dscnt 0x0
	s_clause 0x1
	buffer_store_b64 v[48:49], v53, s[0:3], null offen
	buffer_store_b64 v[50:51], v61, s[0:3], null offen offset:136
	s_wait_dscnt 0x0
	s_barrier_signal -1
	s_barrier_wait -1
	ds_store_b16 v153, v40
	ds_store_b16 v153, v41 offset:128
	ds_store_b16 v153, v42 offset:256
	;; [unrolled: 1-line block ×7, first 2 shown]
	s_wait_dscnt 0x0
	s_barrier_signal -1
	s_barrier_wait -1
	ds_load_b128 v[40:43], v154
	v_add_lshl_u32 v44, v52, s4, 1
	v_cvt_f16_f32_e32 v5, v5
	v_cvt_f16_f32_e32 v6, v6
	;; [unrolled: 1-line block ×3, first 2 shown]
	v_wmma_f32_16x16x16_f16 v[8:15], v[144:147], v[132:135], v[8:15]
	s_delay_alu instid0(VALU_DEP_1)
	v_wmma_f32_16x16x16_f16 v[8:15], v[120:123], v[128:131], v[8:15]
	s_wait_dscnt 0x0
	buffer_store_b128 v[40:43], v44, s[0:3], null offen
	s_wait_dscnt 0x0
	s_barrier_signal -1
	s_barrier_wait -1
	ds_store_b16 v153, v32
	ds_store_b16 v153, v33 offset:128
	ds_store_b16 v153, v34 offset:256
	ds_store_b16 v153, v35 offset:384
	ds_store_b16 v153, v36 offset:512
	ds_store_b16 v153, v37 offset:640
	ds_store_b16 v153, v38 offset:768
	ds_store_b16 v153, v39 offset:896
	s_wait_dscnt 0x0
	s_barrier_signal -1
	s_barrier_wait -1
	ds_load_b128 v[32:35], v154
	v_add_nc_u32_e32 v36, s4, v60
	s_delay_alu instid0(VALU_DEP_1)
	v_lshlrev_b32_e32 v37, 1, v36
	s_wait_dscnt 0x0
	buffer_store_b128 v[32:35], v37, s[0:3], null offen
	s_wait_dscnt 0x0
	s_barrier_signal -1
	s_barrier_wait -1
	ds_store_b16 v153, v24
	ds_store_b16 v153, v25 offset:128
	ds_store_b16 v153, v26 offset:256
	ds_store_b16 v153, v27 offset:384
	ds_store_b16 v153, v28 offset:512
	ds_store_b16 v153, v29 offset:640
	ds_store_b16 v153, v30 offset:768
	ds_store_b16 v153, v31 offset:896
	s_wait_dscnt 0x0
	s_barrier_signal -1
	s_barrier_wait -1
	ds_load_b128 v[24:27], v154
	v_add_nc_u32_e32 v28, s4, v36
	s_delay_alu instid0(VALU_DEP_1)
	v_lshlrev_b32_e32 v29, 1, v28
	s_wait_dscnt 0x0
	buffer_store_b128 v[24:27], v29, s[0:3], null offen
	s_wait_dscnt 0x0
	s_barrier_signal -1
	s_barrier_wait -1
	ds_store_b16 v153, v16
	ds_store_b16 v153, v17 offset:128
	ds_store_b16 v153, v18 offset:256
	ds_store_b16 v153, v19 offset:384
	ds_store_b16 v153, v20 offset:512
	ds_store_b16 v153, v21 offset:640
	ds_store_b16 v153, v22 offset:768
	ds_store_b16 v153, v23 offset:896
	s_wait_dscnt 0x0
	s_barrier_signal -1
	s_barrier_wait -1
	ds_load_b128 v[16:19], v154
	v_add_nc_u32_e32 v20, 64, v28
	s_delay_alu instid0(VALU_DEP_1)
	v_lshlrev_b32_e32 v21, 1, v20
	s_wait_dscnt 0x0
	s_clause 0x1
	buffer_store_b64 v[16:17], v21, s[0:3], null offen
	buffer_store_b64 v[18:19], v29, s[0:3], null offen offset:136
	s_wait_dscnt 0x0
	s_barrier_signal -1
	s_barrier_wait -1
	ds_store_b16 v153, v0
	ds_store_b16 v153, v1 offset:128
	ds_store_b16 v153, v2 offset:256
	;; [unrolled: 1-line block ×7, first 2 shown]
	s_wait_dscnt 0x0
	s_barrier_signal -1
	s_barrier_wait -1
	ds_load_b128 v[0:3], v154
	v_add_lshl_u32 v4, v20, s4, 1
	v_cvt_f16_f32_e32 v5, v13
	v_cvt_f16_f32_e32 v6, v14
	;; [unrolled: 1-line block ×3, first 2 shown]
	s_wait_dscnt 0x0
	buffer_store_b128 v[0:3], v4, s[0:3], null offen
	v_cvt_f16_f32_e32 v0, v8
	v_cvt_f16_f32_e32 v1, v9
	;; [unrolled: 1-line block ×5, first 2 shown]
	s_wait_dscnt 0x0
	s_barrier_signal -1
	s_barrier_wait -1
	ds_store_b16 v153, v0
	ds_store_b16 v153, v1 offset:128
	ds_store_b16 v153, v2 offset:256
	;; [unrolled: 1-line block ×7, first 2 shown]
	s_wait_dscnt 0x0
	s_barrier_signal -1
	s_barrier_wait -1
	ds_load_b128 v[0:3], v154
	v_add_lshl_u32 v4, v28, s4, 1
	s_wait_dscnt 0x0
	buffer_store_b128 v[0:3], v4, s[0:3], null offen
	s_nop 0
	s_sendmsg sendmsg(MSG_DEALLOC_VGPRS)
	s_endpgm
.LBB3_407:
	s_mov_b32 s4, -1
	s_mov_b32 s13, exec_lo
	v_cmpx_eq_u16_e32 0x80, v11
; %bb.408:
	s_xor_b32 s4, exec_lo, -1
; %bb.409:
	s_or_b32 exec_lo, exec_lo, s13
	s_delay_alu instid0(SALU_CYCLE_1)
	s_and_b32 s4, s4, exec_lo
                                        ; implicit-def: $vgpr11
	s_or_saveexec_b32 s12, s12
	v_mov_b32_e32 v10, 0x7c01
	s_xor_b32 exec_lo, exec_lo, s12
	s_cbranch_execz .LBB3_18
.LBB3_410:
	v_cmp_ne_u16_e32 vcc_lo, 0, v11
	v_mov_b32_e32 v10, 0
	s_and_not1_b32 s4, s4, exec_lo
	s_and_b32 s13, vcc_lo, exec_lo
	s_delay_alu instid0(SALU_CYCLE_1)
	s_or_b32 s4, s4, s13
	s_or_b32 exec_lo, exec_lo, s12
	s_and_saveexec_b32 s12, s4
	s_cbranch_execnz .LBB3_19
	s_branch .LBB3_20
.LBB3_411:
	s_mov_b32 s4, -1
	s_mov_b32 s13, exec_lo
	v_cmpx_eq_u16_e32 0x80, v1
; %bb.412:
	s_xor_b32 s4, exec_lo, -1
; %bb.413:
	s_or_b32 exec_lo, exec_lo, s13
	s_delay_alu instid0(SALU_CYCLE_1)
	s_and_b32 s4, s4, exec_lo
                                        ; implicit-def: $vgpr1
	s_or_saveexec_b32 s12, s12
	v_mov_b32_e32 v11, 0x7c01
	s_xor_b32 exec_lo, exec_lo, s12
	s_cbranch_execz .LBB3_22
.LBB3_414:
	v_cmp_ne_u16_e32 vcc_lo, 0, v1
	v_mov_b32_e32 v11, 0
	s_and_not1_b32 s4, s4, exec_lo
	s_and_b32 s13, vcc_lo, exec_lo
	s_delay_alu instid0(SALU_CYCLE_1)
	s_or_b32 s4, s4, s13
	s_or_b32 exec_lo, exec_lo, s12
	s_and_saveexec_b32 s12, s4
	s_cbranch_execnz .LBB3_23
	s_branch .LBB3_24
.LBB3_415:
	s_mov_b32 s4, -1
	s_mov_b32 s13, exec_lo
	v_cmpx_eq_u16_e32 0x80, v1
; %bb.416:
	s_xor_b32 s4, exec_lo, -1
; %bb.417:
	s_or_b32 exec_lo, exec_lo, s13
	s_delay_alu instid0(SALU_CYCLE_1)
	s_and_b32 s4, s4, exec_lo
                                        ; implicit-def: $vgpr1
	s_or_saveexec_b32 s12, s12
	v_mov_b32_e32 v12, 0x7c01
	s_xor_b32 exec_lo, exec_lo, s12
	s_cbranch_execz .LBB3_26
.LBB3_418:
	v_cmp_ne_u16_e32 vcc_lo, 0, v1
	v_mov_b32_e32 v12, 0
	s_and_not1_b32 s4, s4, exec_lo
	s_and_b32 s13, vcc_lo, exec_lo
	s_delay_alu instid0(SALU_CYCLE_1)
	s_or_b32 s4, s4, s13
	s_or_b32 exec_lo, exec_lo, s12
	s_and_saveexec_b32 s12, s4
	s_cbranch_execnz .LBB3_27
	s_branch .LBB3_28
.LBB3_419:
	s_mov_b32 s4, -1
	s_mov_b32 s13, exec_lo
	v_cmpx_eq_u16_e32 0x80, v1
; %bb.420:
	s_xor_b32 s4, exec_lo, -1
; %bb.421:
	s_or_b32 exec_lo, exec_lo, s13
	s_delay_alu instid0(SALU_CYCLE_1)
	s_and_b32 s4, s4, exec_lo
                                        ; implicit-def: $vgpr1
	s_or_saveexec_b32 s12, s12
	v_mov_b32_e32 v13, 0x7c01
	s_xor_b32 exec_lo, exec_lo, s12
	s_cbranch_execz .LBB3_30
.LBB3_422:
	v_cmp_ne_u16_e32 vcc_lo, 0, v1
	v_mov_b32_e32 v13, 0
	s_and_not1_b32 s4, s4, exec_lo
	s_and_b32 s13, vcc_lo, exec_lo
	s_delay_alu instid0(SALU_CYCLE_1)
	s_or_b32 s4, s4, s13
	s_or_b32 exec_lo, exec_lo, s12
	s_and_saveexec_b32 s12, s4
	s_cbranch_execnz .LBB3_31
	s_branch .LBB3_32
.LBB3_423:
	s_mov_b32 s4, -1
	s_mov_b32 s13, exec_lo
	v_cmpx_eq_u16_e32 0x80, v1
; %bb.424:
	s_xor_b32 s4, exec_lo, -1
; %bb.425:
	s_or_b32 exec_lo, exec_lo, s13
	s_delay_alu instid0(SALU_CYCLE_1)
	s_and_b32 s4, s4, exec_lo
                                        ; implicit-def: $vgpr1
	s_or_saveexec_b32 s12, s12
	v_mov_b32_e32 v14, 0x7c01
	s_xor_b32 exec_lo, exec_lo, s12
	s_cbranch_execz .LBB3_34
.LBB3_426:
	v_cmp_ne_u16_e32 vcc_lo, 0, v1
	v_mov_b32_e32 v14, 0
	s_and_not1_b32 s4, s4, exec_lo
	s_and_b32 s13, vcc_lo, exec_lo
	s_delay_alu instid0(SALU_CYCLE_1)
	s_or_b32 s4, s4, s13
	s_or_b32 exec_lo, exec_lo, s12
	s_and_saveexec_b32 s12, s4
	s_cbranch_execnz .LBB3_35
	s_branch .LBB3_36
.LBB3_427:
	s_mov_b32 s12, -1
	s_mov_b32 s13, exec_lo
	v_cmpx_eq_u16_e32 0x80, v4
; %bb.428:
	s_xor_b32 s12, exec_lo, -1
; %bb.429:
	s_or_b32 exec_lo, exec_lo, s13
	s_delay_alu instid0(SALU_CYCLE_1)
	s_and_b32 s12, s12, exec_lo
	s_or_saveexec_b32 s4, s4
	v_mov_b32_e32 v15, 0x7c01
	s_xor_b32 exec_lo, exec_lo, s4
	s_cbranch_execz .LBB3_38
.LBB3_430:
	v_cmp_ne_u16_e32 vcc_lo, 0, v4
	v_mov_b32_e32 v15, 0
	s_and_not1_b32 s12, s12, exec_lo
	s_and_b32 s13, vcc_lo, exec_lo
	s_delay_alu instid0(SALU_CYCLE_1)
	s_or_b32 s12, s12, s13
	s_or_b32 exec_lo, exec_lo, s4
	s_and_saveexec_b32 s4, s12
	s_cbranch_execnz .LBB3_39
	s_branch .LBB3_40
.LBB3_431:
	s_mov_b32 s4, -1
	s_mov_b32 s13, exec_lo
	v_cmpx_eq_u16_e32 0x80, v3
; %bb.432:
	s_xor_b32 s4, exec_lo, -1
; %bb.433:
	s_or_b32 exec_lo, exec_lo, s13
	s_delay_alu instid0(SALU_CYCLE_1)
	s_and_b32 s4, s4, exec_lo
                                        ; implicit-def: $vgpr3
	s_or_saveexec_b32 s12, s12
	v_mov_b32_e32 v16, 0x7c01
	s_xor_b32 exec_lo, exec_lo, s12
	s_cbranch_execz .LBB3_42
.LBB3_434:
	v_cmp_ne_u16_e32 vcc_lo, 0, v3
	v_mov_b32_e32 v16, 0
	s_and_not1_b32 s4, s4, exec_lo
	s_and_b32 s13, vcc_lo, exec_lo
	s_delay_alu instid0(SALU_CYCLE_1)
	s_or_b32 s4, s4, s13
	s_or_b32 exec_lo, exec_lo, s12
	s_and_saveexec_b32 s12, s4
	s_cbranch_execnz .LBB3_43
	s_branch .LBB3_44
.LBB3_435:
	s_mov_b32 s4, -1
	s_mov_b32 s13, exec_lo
	v_cmpx_eq_u16_e32 0x80, v19
; %bb.436:
	s_xor_b32 s4, exec_lo, -1
; %bb.437:
	s_or_b32 exec_lo, exec_lo, s13
	s_delay_alu instid0(SALU_CYCLE_1)
	s_and_b32 s4, s4, exec_lo
                                        ; implicit-def: $vgpr19
	s_or_saveexec_b32 s12, s12
	v_mov_b32_e32 v18, 0x7c01
	s_xor_b32 exec_lo, exec_lo, s12
	s_cbranch_execz .LBB3_54
.LBB3_438:
	v_cmp_ne_u16_e32 vcc_lo, 0, v19
	v_mov_b32_e32 v18, 0
	s_and_not1_b32 s4, s4, exec_lo
	s_and_b32 s13, vcc_lo, exec_lo
	s_delay_alu instid0(SALU_CYCLE_1)
	s_or_b32 s4, s4, s13
	s_or_b32 exec_lo, exec_lo, s12
	s_and_saveexec_b32 s12, s4
	s_cbranch_execnz .LBB3_55
	s_branch .LBB3_56
.LBB3_439:
	s_mov_b32 s4, -1
	s_mov_b32 s13, exec_lo
	v_cmpx_eq_u16_e32 0x80, v1
; %bb.440:
	s_xor_b32 s4, exec_lo, -1
; %bb.441:
	s_or_b32 exec_lo, exec_lo, s13
	s_delay_alu instid0(SALU_CYCLE_1)
	s_and_b32 s4, s4, exec_lo
                                        ; implicit-def: $vgpr1
	s_or_saveexec_b32 s12, s12
	v_mov_b32_e32 v19, 0x7c01
	s_xor_b32 exec_lo, exec_lo, s12
	s_cbranch_execz .LBB3_58
.LBB3_442:
	v_cmp_ne_u16_e32 vcc_lo, 0, v1
	v_mov_b32_e32 v19, 0
	s_and_not1_b32 s4, s4, exec_lo
	s_and_b32 s13, vcc_lo, exec_lo
	s_delay_alu instid0(SALU_CYCLE_1)
	s_or_b32 s4, s4, s13
	s_or_b32 exec_lo, exec_lo, s12
	s_and_saveexec_b32 s12, s4
	s_cbranch_execnz .LBB3_59
	s_branch .LBB3_60
.LBB3_443:
	s_mov_b32 s4, -1
	s_mov_b32 s13, exec_lo
	v_cmpx_eq_u16_e32 0x80, v1
; %bb.444:
	s_xor_b32 s4, exec_lo, -1
; %bb.445:
	s_or_b32 exec_lo, exec_lo, s13
	s_delay_alu instid0(SALU_CYCLE_1)
	s_and_b32 s4, s4, exec_lo
                                        ; implicit-def: $vgpr1
	s_or_saveexec_b32 s12, s12
	v_mov_b32_e32 v20, 0x7c01
	s_xor_b32 exec_lo, exec_lo, s12
	s_cbranch_execz .LBB3_62
.LBB3_446:
	v_cmp_ne_u16_e32 vcc_lo, 0, v1
	v_mov_b32_e32 v20, 0
	s_and_not1_b32 s4, s4, exec_lo
	s_and_b32 s13, vcc_lo, exec_lo
	s_delay_alu instid0(SALU_CYCLE_1)
	s_or_b32 s4, s4, s13
	s_or_b32 exec_lo, exec_lo, s12
	s_and_saveexec_b32 s12, s4
	s_cbranch_execnz .LBB3_63
	s_branch .LBB3_64
.LBB3_447:
	s_mov_b32 s4, -1
	s_mov_b32 s13, exec_lo
	v_cmpx_eq_u16_e32 0x80, v1
; %bb.448:
	s_xor_b32 s4, exec_lo, -1
; %bb.449:
	s_or_b32 exec_lo, exec_lo, s13
	s_delay_alu instid0(SALU_CYCLE_1)
	s_and_b32 s4, s4, exec_lo
                                        ; implicit-def: $vgpr1
	s_or_saveexec_b32 s12, s12
	v_mov_b32_e32 v21, 0x7c01
	s_xor_b32 exec_lo, exec_lo, s12
	s_cbranch_execz .LBB3_66
.LBB3_450:
	v_cmp_ne_u16_e32 vcc_lo, 0, v1
	v_mov_b32_e32 v21, 0
	s_and_not1_b32 s4, s4, exec_lo
	s_and_b32 s13, vcc_lo, exec_lo
	s_delay_alu instid0(SALU_CYCLE_1)
	s_or_b32 s4, s4, s13
	s_or_b32 exec_lo, exec_lo, s12
	s_and_saveexec_b32 s12, s4
	s_cbranch_execnz .LBB3_67
	s_branch .LBB3_68
.LBB3_451:
	s_mov_b32 s4, -1
	s_mov_b32 s13, exec_lo
	v_cmpx_eq_u16_e32 0x80, v1
; %bb.452:
	s_xor_b32 s4, exec_lo, -1
; %bb.453:
	s_or_b32 exec_lo, exec_lo, s13
	s_delay_alu instid0(SALU_CYCLE_1)
	s_and_b32 s4, s4, exec_lo
                                        ; implicit-def: $vgpr1
	s_or_saveexec_b32 s12, s12
	v_mov_b32_e32 v22, 0x7c01
	s_xor_b32 exec_lo, exec_lo, s12
	s_cbranch_execz .LBB3_70
.LBB3_454:
	v_cmp_ne_u16_e32 vcc_lo, 0, v1
	v_mov_b32_e32 v22, 0
	s_and_not1_b32 s4, s4, exec_lo
	s_and_b32 s13, vcc_lo, exec_lo
	s_delay_alu instid0(SALU_CYCLE_1)
	s_or_b32 s4, s4, s13
	s_or_b32 exec_lo, exec_lo, s12
	s_and_saveexec_b32 s12, s4
	s_cbranch_execnz .LBB3_71
	s_branch .LBB3_72
.LBB3_455:
	s_mov_b32 s12, -1
	s_mov_b32 s13, exec_lo
	v_cmpx_eq_u16_e32 0x80, v4
; %bb.456:
	s_xor_b32 s12, exec_lo, -1
; %bb.457:
	s_or_b32 exec_lo, exec_lo, s13
	s_delay_alu instid0(SALU_CYCLE_1)
	s_and_b32 s12, s12, exec_lo
	s_or_saveexec_b32 s4, s4
	v_mov_b32_e32 v23, 0x7c01
	s_xor_b32 exec_lo, exec_lo, s4
	s_cbranch_execz .LBB3_74
.LBB3_458:
	v_cmp_ne_u16_e32 vcc_lo, 0, v4
	v_mov_b32_e32 v23, 0
	s_and_not1_b32 s12, s12, exec_lo
	s_and_b32 s13, vcc_lo, exec_lo
	s_delay_alu instid0(SALU_CYCLE_1)
	s_or_b32 s12, s12, s13
	s_or_b32 exec_lo, exec_lo, s4
	s_and_saveexec_b32 s4, s12
	s_cbranch_execnz .LBB3_75
	s_branch .LBB3_76
.LBB3_459:
	s_mov_b32 s4, -1
	s_mov_b32 s13, exec_lo
	v_cmpx_eq_u16_e32 0x80, v3
; %bb.460:
	s_xor_b32 s4, exec_lo, -1
; %bb.461:
	s_or_b32 exec_lo, exec_lo, s13
	s_delay_alu instid0(SALU_CYCLE_1)
	s_and_b32 s4, s4, exec_lo
                                        ; implicit-def: $vgpr3
	s_or_saveexec_b32 s12, s12
	v_mov_b32_e32 v24, 0x7c01
	s_xor_b32 exec_lo, exec_lo, s12
	s_cbranch_execz .LBB3_78
.LBB3_462:
	v_cmp_ne_u16_e32 vcc_lo, 0, v3
	v_mov_b32_e32 v24, 0
	s_and_not1_b32 s4, s4, exec_lo
	s_and_b32 s13, vcc_lo, exec_lo
	s_delay_alu instid0(SALU_CYCLE_1)
	s_or_b32 s4, s4, s13
	s_or_b32 exec_lo, exec_lo, s12
	s_and_saveexec_b32 s12, s4
	s_cbranch_execnz .LBB3_79
	s_branch .LBB3_80
.LBB3_463:
	s_mov_b32 s4, -1
	s_mov_b32 s13, exec_lo
	v_cmpx_eq_u16_e32 0x80, v27
; %bb.464:
	s_xor_b32 s4, exec_lo, -1
; %bb.465:
	s_or_b32 exec_lo, exec_lo, s13
	s_delay_alu instid0(SALU_CYCLE_1)
	s_and_b32 s4, s4, exec_lo
                                        ; implicit-def: $vgpr27
	s_or_saveexec_b32 s12, s12
	v_mov_b32_e32 v26, 0x7c01
	s_xor_b32 exec_lo, exec_lo, s12
	s_cbranch_execz .LBB3_90
.LBB3_466:
	v_cmp_ne_u16_e32 vcc_lo, 0, v27
	v_mov_b32_e32 v26, 0
	s_and_not1_b32 s4, s4, exec_lo
	s_and_b32 s13, vcc_lo, exec_lo
	s_delay_alu instid0(SALU_CYCLE_1)
	s_or_b32 s4, s4, s13
	s_or_b32 exec_lo, exec_lo, s12
	s_and_saveexec_b32 s12, s4
	s_cbranch_execnz .LBB3_91
	s_branch .LBB3_92
.LBB3_467:
	s_mov_b32 s4, -1
	s_mov_b32 s13, exec_lo
	v_cmpx_eq_u16_e32 0x80, v1
; %bb.468:
	s_xor_b32 s4, exec_lo, -1
; %bb.469:
	s_or_b32 exec_lo, exec_lo, s13
	s_delay_alu instid0(SALU_CYCLE_1)
	s_and_b32 s4, s4, exec_lo
                                        ; implicit-def: $vgpr1
	s_or_saveexec_b32 s12, s12
	v_mov_b32_e32 v27, 0x7c01
	s_xor_b32 exec_lo, exec_lo, s12
	s_cbranch_execz .LBB3_94
.LBB3_470:
	v_cmp_ne_u16_e32 vcc_lo, 0, v1
	v_mov_b32_e32 v27, 0
	s_and_not1_b32 s4, s4, exec_lo
	s_and_b32 s13, vcc_lo, exec_lo
	s_delay_alu instid0(SALU_CYCLE_1)
	s_or_b32 s4, s4, s13
	s_or_b32 exec_lo, exec_lo, s12
	s_and_saveexec_b32 s12, s4
	s_cbranch_execnz .LBB3_95
	s_branch .LBB3_96
.LBB3_471:
	s_mov_b32 s4, -1
	s_mov_b32 s13, exec_lo
	v_cmpx_eq_u16_e32 0x80, v1
; %bb.472:
	s_xor_b32 s4, exec_lo, -1
; %bb.473:
	s_or_b32 exec_lo, exec_lo, s13
	s_delay_alu instid0(SALU_CYCLE_1)
	s_and_b32 s4, s4, exec_lo
                                        ; implicit-def: $vgpr1
	s_or_saveexec_b32 s12, s12
	v_mov_b32_e32 v28, 0x7c01
	s_xor_b32 exec_lo, exec_lo, s12
	s_cbranch_execz .LBB3_98
.LBB3_474:
	v_cmp_ne_u16_e32 vcc_lo, 0, v1
	v_mov_b32_e32 v28, 0
	s_and_not1_b32 s4, s4, exec_lo
	s_and_b32 s13, vcc_lo, exec_lo
	s_delay_alu instid0(SALU_CYCLE_1)
	s_or_b32 s4, s4, s13
	s_or_b32 exec_lo, exec_lo, s12
	s_and_saveexec_b32 s12, s4
	s_cbranch_execnz .LBB3_99
	s_branch .LBB3_100
.LBB3_475:
	s_mov_b32 s4, -1
	s_mov_b32 s13, exec_lo
	v_cmpx_eq_u16_e32 0x80, v1
; %bb.476:
	s_xor_b32 s4, exec_lo, -1
; %bb.477:
	s_or_b32 exec_lo, exec_lo, s13
	s_delay_alu instid0(SALU_CYCLE_1)
	s_and_b32 s4, s4, exec_lo
                                        ; implicit-def: $vgpr1
	s_or_saveexec_b32 s12, s12
	v_mov_b32_e32 v29, 0x7c01
	s_xor_b32 exec_lo, exec_lo, s12
	s_cbranch_execz .LBB3_102
.LBB3_478:
	v_cmp_ne_u16_e32 vcc_lo, 0, v1
	v_mov_b32_e32 v29, 0
	s_and_not1_b32 s4, s4, exec_lo
	s_and_b32 s13, vcc_lo, exec_lo
	s_delay_alu instid0(SALU_CYCLE_1)
	s_or_b32 s4, s4, s13
	s_or_b32 exec_lo, exec_lo, s12
	s_and_saveexec_b32 s12, s4
	s_cbranch_execnz .LBB3_103
	s_branch .LBB3_104
.LBB3_479:
	s_mov_b32 s4, -1
	s_mov_b32 s13, exec_lo
	v_cmpx_eq_u16_e32 0x80, v1
; %bb.480:
	s_xor_b32 s4, exec_lo, -1
; %bb.481:
	s_or_b32 exec_lo, exec_lo, s13
	s_delay_alu instid0(SALU_CYCLE_1)
	s_and_b32 s4, s4, exec_lo
                                        ; implicit-def: $vgpr1
	s_or_saveexec_b32 s12, s12
	v_mov_b32_e32 v30, 0x7c01
	s_xor_b32 exec_lo, exec_lo, s12
	s_cbranch_execz .LBB3_106
.LBB3_482:
	v_cmp_ne_u16_e32 vcc_lo, 0, v1
	v_mov_b32_e32 v30, 0
	s_and_not1_b32 s4, s4, exec_lo
	s_and_b32 s13, vcc_lo, exec_lo
	s_delay_alu instid0(SALU_CYCLE_1)
	s_or_b32 s4, s4, s13
	s_or_b32 exec_lo, exec_lo, s12
	s_and_saveexec_b32 s12, s4
	s_cbranch_execnz .LBB3_107
	s_branch .LBB3_108
.LBB3_483:
	s_mov_b32 s12, -1
	s_mov_b32 s13, exec_lo
	v_cmpx_eq_u16_e32 0x80, v4
; %bb.484:
	s_xor_b32 s12, exec_lo, -1
; %bb.485:
	s_or_b32 exec_lo, exec_lo, s13
	s_delay_alu instid0(SALU_CYCLE_1)
	s_and_b32 s12, s12, exec_lo
	s_or_saveexec_b32 s4, s4
	v_mov_b32_e32 v31, 0x7c01
	s_xor_b32 exec_lo, exec_lo, s4
	s_cbranch_execz .LBB3_110
.LBB3_486:
	v_cmp_ne_u16_e32 vcc_lo, 0, v4
	v_mov_b32_e32 v31, 0
	s_and_not1_b32 s12, s12, exec_lo
	s_and_b32 s13, vcc_lo, exec_lo
	s_delay_alu instid0(SALU_CYCLE_1)
	s_or_b32 s12, s12, s13
	s_or_b32 exec_lo, exec_lo, s4
	s_and_saveexec_b32 s4, s12
	s_cbranch_execnz .LBB3_111
	s_branch .LBB3_112
.LBB3_487:
	s_mov_b32 s4, -1
	s_mov_b32 s13, exec_lo
	v_cmpx_eq_u16_e32 0x80, v3
; %bb.488:
	s_xor_b32 s4, exec_lo, -1
; %bb.489:
	s_or_b32 exec_lo, exec_lo, s13
	s_delay_alu instid0(SALU_CYCLE_1)
	s_and_b32 s4, s4, exec_lo
                                        ; implicit-def: $vgpr3
	s_or_saveexec_b32 s12, s12
	v_mov_b32_e32 v32, 0x7c01
	s_xor_b32 exec_lo, exec_lo, s12
	s_cbranch_execz .LBB3_114
.LBB3_490:
	v_cmp_ne_u16_e32 vcc_lo, 0, v3
	v_mov_b32_e32 v32, 0
	s_and_not1_b32 s4, s4, exec_lo
	s_and_b32 s13, vcc_lo, exec_lo
	s_delay_alu instid0(SALU_CYCLE_1)
	s_or_b32 s4, s4, s13
	s_or_b32 exec_lo, exec_lo, s12
	s_and_saveexec_b32 s12, s4
	s_cbranch_execnz .LBB3_115
	s_branch .LBB3_116
.LBB3_491:
	s_mov_b32 s4, -1
	s_mov_b32 s13, exec_lo
	v_cmpx_eq_u16_e32 0x80, v37
; %bb.492:
	s_xor_b32 s4, exec_lo, -1
; %bb.493:
	s_or_b32 exec_lo, exec_lo, s13
	s_delay_alu instid0(SALU_CYCLE_1)
	s_and_b32 s4, s4, exec_lo
                                        ; implicit-def: $vgpr37
	s_or_saveexec_b32 s12, s12
	v_mov_b32_e32 v1, 0x7c01
	s_xor_b32 exec_lo, exec_lo, s12
	s_cbranch_execz .LBB3_126
.LBB3_494:
	v_cmp_ne_u16_e32 vcc_lo, 0, v37
	v_mov_b32_e32 v1, 0
	s_and_not1_b32 s4, s4, exec_lo
	s_and_b32 s13, vcc_lo, exec_lo
	s_delay_alu instid0(SALU_CYCLE_1)
	s_or_b32 s4, s4, s13
	s_or_b32 exec_lo, exec_lo, s12
	s_and_saveexec_b32 s12, s4
	s_cbranch_execnz .LBB3_127
	s_branch .LBB3_128
.LBB3_495:
	s_mov_b32 s4, -1
	s_mov_b32 s13, exec_lo
	v_cmpx_eq_u16_e32 0x80, v37
; %bb.496:
	s_xor_b32 s4, exec_lo, -1
; %bb.497:
	s_or_b32 exec_lo, exec_lo, s13
	s_delay_alu instid0(SALU_CYCLE_1)
	s_and_b32 s4, s4, exec_lo
                                        ; implicit-def: $vgpr37
	s_or_saveexec_b32 s12, s12
	v_mov_b32_e32 v34, 0x7c01
	s_xor_b32 exec_lo, exec_lo, s12
	s_cbranch_execz .LBB3_130
.LBB3_498:
	v_cmp_ne_u16_e32 vcc_lo, 0, v37
	v_mov_b32_e32 v34, 0
	s_and_not1_b32 s4, s4, exec_lo
	s_and_b32 s13, vcc_lo, exec_lo
	s_delay_alu instid0(SALU_CYCLE_1)
	s_or_b32 s4, s4, s13
	s_or_b32 exec_lo, exec_lo, s12
	s_and_saveexec_b32 s12, s4
	s_cbranch_execnz .LBB3_131
	s_branch .LBB3_132
.LBB3_499:
	s_mov_b32 s4, -1
	s_mov_b32 s13, exec_lo
	v_cmpx_eq_u16_e32 0x80, v37
; %bb.500:
	s_xor_b32 s4, exec_lo, -1
; %bb.501:
	s_or_b32 exec_lo, exec_lo, s13
	s_delay_alu instid0(SALU_CYCLE_1)
	s_and_b32 s4, s4, exec_lo
                                        ; implicit-def: $vgpr37
	s_or_saveexec_b32 s12, s12
	v_mov_b32_e32 v3, 0x7c01
	s_xor_b32 exec_lo, exec_lo, s12
	s_cbranch_execz .LBB3_134
.LBB3_502:
	v_cmp_ne_u16_e32 vcc_lo, 0, v37
	v_mov_b32_e32 v3, 0
	s_and_not1_b32 s4, s4, exec_lo
	s_and_b32 s13, vcc_lo, exec_lo
	s_delay_alu instid0(SALU_CYCLE_1)
	s_or_b32 s4, s4, s13
	s_or_b32 exec_lo, exec_lo, s12
	s_and_saveexec_b32 s12, s4
	s_cbranch_execnz .LBB3_135
	s_branch .LBB3_136
.LBB3_503:
	s_mov_b32 s4, -1
	s_mov_b32 s13, exec_lo
	v_cmpx_eq_u16_e32 0x80, v37
; %bb.504:
	s_xor_b32 s4, exec_lo, -1
; %bb.505:
	s_or_b32 exec_lo, exec_lo, s13
	s_delay_alu instid0(SALU_CYCLE_1)
	s_and_b32 s4, s4, exec_lo
                                        ; implicit-def: $vgpr37
	s_or_saveexec_b32 s12, s12
	v_mov_b32_e32 v2, 0x7c01
	s_xor_b32 exec_lo, exec_lo, s12
	s_cbranch_execz .LBB3_138
.LBB3_506:
	v_cmp_ne_u16_e32 vcc_lo, 0, v37
	v_mov_b32_e32 v2, 0
	s_and_not1_b32 s4, s4, exec_lo
	s_and_b32 s13, vcc_lo, exec_lo
	s_delay_alu instid0(SALU_CYCLE_1)
	s_or_b32 s4, s4, s13
	s_or_b32 exec_lo, exec_lo, s12
	s_and_saveexec_b32 s12, s4
	s_cbranch_execnz .LBB3_139
	s_branch .LBB3_140
.LBB3_507:
	s_mov_b32 s4, -1
	s_mov_b32 s13, exec_lo
	v_cmpx_eq_u16_e32 0x80, v37
; %bb.508:
	s_xor_b32 s4, exec_lo, -1
; %bb.509:
	s_or_b32 exec_lo, exec_lo, s13
	s_delay_alu instid0(SALU_CYCLE_1)
	s_and_b32 s4, s4, exec_lo
                                        ; implicit-def: $vgpr37
	s_or_saveexec_b32 s12, s12
	v_mov_b32_e32 v36, 0x7c01
	s_xor_b32 exec_lo, exec_lo, s12
	s_cbranch_execz .LBB3_142
.LBB3_510:
	v_cmp_ne_u16_e32 vcc_lo, 0, v37
	v_mov_b32_e32 v36, 0
	s_and_not1_b32 s4, s4, exec_lo
	s_and_b32 s13, vcc_lo, exec_lo
	s_delay_alu instid0(SALU_CYCLE_1)
	s_or_b32 s4, s4, s13
	s_or_b32 exec_lo, exec_lo, s12
	s_and_saveexec_b32 s12, s4
	s_cbranch_execnz .LBB3_143
	s_branch .LBB3_144
.LBB3_511:
	s_mov_b32 s12, -1
	s_mov_b32 s13, exec_lo
	v_cmpx_eq_u16_e32 0x80, v4
; %bb.512:
	s_xor_b32 s12, exec_lo, -1
; %bb.513:
	s_or_b32 exec_lo, exec_lo, s13
	s_delay_alu instid0(SALU_CYCLE_1)
	s_and_b32 s12, s12, exec_lo
	s_or_saveexec_b32 s4, s4
	v_mov_b32_e32 v35, 0x7c01
	s_xor_b32 exec_lo, exec_lo, s4
	s_cbranch_execz .LBB3_146
.LBB3_514:
	v_cmp_ne_u16_e32 vcc_lo, 0, v4
	v_mov_b32_e32 v35, 0
	s_and_not1_b32 s12, s12, exec_lo
	s_and_b32 s13, vcc_lo, exec_lo
	s_delay_alu instid0(SALU_CYCLE_1)
	s_or_b32 s12, s12, s13
	s_or_b32 exec_lo, exec_lo, s4
	s_and_saveexec_b32 s4, s12
	s_cbranch_execnz .LBB3_147
	s_branch .LBB3_148
	.section	.rodata,"a",@progbits
	.p2align	6, 0x0
	.amdhsa_kernel _ZN2ck27kernel_gemm_xdl_cshuffle_v1INS_43GridwiseGemm_k0mk1_k0nk1_mn_xdl_cshuffle_v1INS_13tensor_layout4gemm8RowMajorENS3_11ColumnMajorES4_NS_9f8_fnuz_tEDF16_fDF16_DF16_NS_16tensor_operation12element_wise11PassThroughES9_S9_LNS7_6device18GemmSpecializationE0ELNS_25InMemoryDataOperationEnumE0ELi1ELi256ELi256ELi128ELi32ELi8ELi8ELi16ELi16ELi8ELi2ENS_8SequenceIJLi4ELi64ELi1EEEENSD_IJLi1ELi0ELi2EEEESF_Li2ELi8ELi8ELb0ELi1ESE_SF_SF_Li2ELi8ELi8ELb0ELi1ELi1ELi1ENSD_IJLi1ELi32ELi1ELi8EEEELi4ELNS_13LoopSchedulerE0ELNS_15PipelineVersionE0EDF16_DF16_EELb1EEEvNT_8ArgumentE
		.amdhsa_group_segment_fixed_size 24672
		.amdhsa_private_segment_fixed_size 0
		.amdhsa_kernarg_size 96
		.amdhsa_user_sgpr_count 2
		.amdhsa_user_sgpr_dispatch_ptr 0
		.amdhsa_user_sgpr_queue_ptr 0
		.amdhsa_user_sgpr_kernarg_segment_ptr 1
		.amdhsa_user_sgpr_dispatch_id 0
		.amdhsa_user_sgpr_private_segment_size 0
		.amdhsa_wavefront_size32 1
		.amdhsa_uses_dynamic_stack 0
		.amdhsa_enable_private_segment 0
		.amdhsa_system_sgpr_workgroup_id_x 1
		.amdhsa_system_sgpr_workgroup_id_y 0
		.amdhsa_system_sgpr_workgroup_id_z 0
		.amdhsa_system_sgpr_workgroup_info 0
		.amdhsa_system_vgpr_workitem_id 0
		.amdhsa_next_free_vgpr 224
		.amdhsa_next_free_sgpr 29
		.amdhsa_reserve_vcc 1
		.amdhsa_float_round_mode_32 0
		.amdhsa_float_round_mode_16_64 0
		.amdhsa_float_denorm_mode_32 3
		.amdhsa_float_denorm_mode_16_64 3
		.amdhsa_fp16_overflow 0
		.amdhsa_workgroup_processor_mode 1
		.amdhsa_memory_ordered 1
		.amdhsa_forward_progress 1
		.amdhsa_inst_pref_size 204
		.amdhsa_round_robin_scheduling 0
		.amdhsa_exception_fp_ieee_invalid_op 0
		.amdhsa_exception_fp_denorm_src 0
		.amdhsa_exception_fp_ieee_div_zero 0
		.amdhsa_exception_fp_ieee_overflow 0
		.amdhsa_exception_fp_ieee_underflow 0
		.amdhsa_exception_fp_ieee_inexact 0
		.amdhsa_exception_int_div_zero 0
	.end_amdhsa_kernel
	.section	.text._ZN2ck27kernel_gemm_xdl_cshuffle_v1INS_43GridwiseGemm_k0mk1_k0nk1_mn_xdl_cshuffle_v1INS_13tensor_layout4gemm8RowMajorENS3_11ColumnMajorES4_NS_9f8_fnuz_tEDF16_fDF16_DF16_NS_16tensor_operation12element_wise11PassThroughES9_S9_LNS7_6device18GemmSpecializationE0ELNS_25InMemoryDataOperationEnumE0ELi1ELi256ELi256ELi128ELi32ELi8ELi8ELi16ELi16ELi8ELi2ENS_8SequenceIJLi4ELi64ELi1EEEENSD_IJLi1ELi0ELi2EEEESF_Li2ELi8ELi8ELb0ELi1ESE_SF_SF_Li2ELi8ELi8ELb0ELi1ELi1ELi1ENSD_IJLi1ELi32ELi1ELi8EEEELi4ELNS_13LoopSchedulerE0ELNS_15PipelineVersionE0EDF16_DF16_EELb1EEEvNT_8ArgumentE,"axG",@progbits,_ZN2ck27kernel_gemm_xdl_cshuffle_v1INS_43GridwiseGemm_k0mk1_k0nk1_mn_xdl_cshuffle_v1INS_13tensor_layout4gemm8RowMajorENS3_11ColumnMajorES4_NS_9f8_fnuz_tEDF16_fDF16_DF16_NS_16tensor_operation12element_wise11PassThroughES9_S9_LNS7_6device18GemmSpecializationE0ELNS_25InMemoryDataOperationEnumE0ELi1ELi256ELi256ELi128ELi32ELi8ELi8ELi16ELi16ELi8ELi2ENS_8SequenceIJLi4ELi64ELi1EEEENSD_IJLi1ELi0ELi2EEEESF_Li2ELi8ELi8ELb0ELi1ESE_SF_SF_Li2ELi8ELi8ELb0ELi1ELi1ELi1ENSD_IJLi1ELi32ELi1ELi8EEEELi4ELNS_13LoopSchedulerE0ELNS_15PipelineVersionE0EDF16_DF16_EELb1EEEvNT_8ArgumentE,comdat
.Lfunc_end3:
	.size	_ZN2ck27kernel_gemm_xdl_cshuffle_v1INS_43GridwiseGemm_k0mk1_k0nk1_mn_xdl_cshuffle_v1INS_13tensor_layout4gemm8RowMajorENS3_11ColumnMajorES4_NS_9f8_fnuz_tEDF16_fDF16_DF16_NS_16tensor_operation12element_wise11PassThroughES9_S9_LNS7_6device18GemmSpecializationE0ELNS_25InMemoryDataOperationEnumE0ELi1ELi256ELi256ELi128ELi32ELi8ELi8ELi16ELi16ELi8ELi2ENS_8SequenceIJLi4ELi64ELi1EEEENSD_IJLi1ELi0ELi2EEEESF_Li2ELi8ELi8ELb0ELi1ESE_SF_SF_Li2ELi8ELi8ELb0ELi1ELi1ELi1ENSD_IJLi1ELi32ELi1ELi8EEEELi4ELNS_13LoopSchedulerE0ELNS_15PipelineVersionE0EDF16_DF16_EELb1EEEvNT_8ArgumentE, .Lfunc_end3-_ZN2ck27kernel_gemm_xdl_cshuffle_v1INS_43GridwiseGemm_k0mk1_k0nk1_mn_xdl_cshuffle_v1INS_13tensor_layout4gemm8RowMajorENS3_11ColumnMajorES4_NS_9f8_fnuz_tEDF16_fDF16_DF16_NS_16tensor_operation12element_wise11PassThroughES9_S9_LNS7_6device18GemmSpecializationE0ELNS_25InMemoryDataOperationEnumE0ELi1ELi256ELi256ELi128ELi32ELi8ELi8ELi16ELi16ELi8ELi2ENS_8SequenceIJLi4ELi64ELi1EEEENSD_IJLi1ELi0ELi2EEEESF_Li2ELi8ELi8ELb0ELi1ESE_SF_SF_Li2ELi8ELi8ELb0ELi1ELi1ELi1ENSD_IJLi1ELi32ELi1ELi8EEEELi4ELNS_13LoopSchedulerE0ELNS_15PipelineVersionE0EDF16_DF16_EELb1EEEvNT_8ArgumentE
                                        ; -- End function
	.set _ZN2ck27kernel_gemm_xdl_cshuffle_v1INS_43GridwiseGemm_k0mk1_k0nk1_mn_xdl_cshuffle_v1INS_13tensor_layout4gemm8RowMajorENS3_11ColumnMajorES4_NS_9f8_fnuz_tEDF16_fDF16_DF16_NS_16tensor_operation12element_wise11PassThroughES9_S9_LNS7_6device18GemmSpecializationE0ELNS_25InMemoryDataOperationEnumE0ELi1ELi256ELi256ELi128ELi32ELi8ELi8ELi16ELi16ELi8ELi2ENS_8SequenceIJLi4ELi64ELi1EEEENSD_IJLi1ELi0ELi2EEEESF_Li2ELi8ELi8ELb0ELi1ESE_SF_SF_Li2ELi8ELi8ELb0ELi1ELi1ELi1ENSD_IJLi1ELi32ELi1ELi8EEEELi4ELNS_13LoopSchedulerE0ELNS_15PipelineVersionE0EDF16_DF16_EELb1EEEvNT_8ArgumentE.num_vgpr, 224
	.set _ZN2ck27kernel_gemm_xdl_cshuffle_v1INS_43GridwiseGemm_k0mk1_k0nk1_mn_xdl_cshuffle_v1INS_13tensor_layout4gemm8RowMajorENS3_11ColumnMajorES4_NS_9f8_fnuz_tEDF16_fDF16_DF16_NS_16tensor_operation12element_wise11PassThroughES9_S9_LNS7_6device18GemmSpecializationE0ELNS_25InMemoryDataOperationEnumE0ELi1ELi256ELi256ELi128ELi32ELi8ELi8ELi16ELi16ELi8ELi2ENS_8SequenceIJLi4ELi64ELi1EEEENSD_IJLi1ELi0ELi2EEEESF_Li2ELi8ELi8ELb0ELi1ESE_SF_SF_Li2ELi8ELi8ELb0ELi1ELi1ELi1ENSD_IJLi1ELi32ELi1ELi8EEEELi4ELNS_13LoopSchedulerE0ELNS_15PipelineVersionE0EDF16_DF16_EELb1EEEvNT_8ArgumentE.num_agpr, 0
	.set _ZN2ck27kernel_gemm_xdl_cshuffle_v1INS_43GridwiseGemm_k0mk1_k0nk1_mn_xdl_cshuffle_v1INS_13tensor_layout4gemm8RowMajorENS3_11ColumnMajorES4_NS_9f8_fnuz_tEDF16_fDF16_DF16_NS_16tensor_operation12element_wise11PassThroughES9_S9_LNS7_6device18GemmSpecializationE0ELNS_25InMemoryDataOperationEnumE0ELi1ELi256ELi256ELi128ELi32ELi8ELi8ELi16ELi16ELi8ELi2ENS_8SequenceIJLi4ELi64ELi1EEEENSD_IJLi1ELi0ELi2EEEESF_Li2ELi8ELi8ELb0ELi1ESE_SF_SF_Li2ELi8ELi8ELb0ELi1ELi1ELi1ENSD_IJLi1ELi32ELi1ELi8EEEELi4ELNS_13LoopSchedulerE0ELNS_15PipelineVersionE0EDF16_DF16_EELb1EEEvNT_8ArgumentE.numbered_sgpr, 29
	.set _ZN2ck27kernel_gemm_xdl_cshuffle_v1INS_43GridwiseGemm_k0mk1_k0nk1_mn_xdl_cshuffle_v1INS_13tensor_layout4gemm8RowMajorENS3_11ColumnMajorES4_NS_9f8_fnuz_tEDF16_fDF16_DF16_NS_16tensor_operation12element_wise11PassThroughES9_S9_LNS7_6device18GemmSpecializationE0ELNS_25InMemoryDataOperationEnumE0ELi1ELi256ELi256ELi128ELi32ELi8ELi8ELi16ELi16ELi8ELi2ENS_8SequenceIJLi4ELi64ELi1EEEENSD_IJLi1ELi0ELi2EEEESF_Li2ELi8ELi8ELb0ELi1ESE_SF_SF_Li2ELi8ELi8ELb0ELi1ELi1ELi1ENSD_IJLi1ELi32ELi1ELi8EEEELi4ELNS_13LoopSchedulerE0ELNS_15PipelineVersionE0EDF16_DF16_EELb1EEEvNT_8ArgumentE.num_named_barrier, 0
	.set _ZN2ck27kernel_gemm_xdl_cshuffle_v1INS_43GridwiseGemm_k0mk1_k0nk1_mn_xdl_cshuffle_v1INS_13tensor_layout4gemm8RowMajorENS3_11ColumnMajorES4_NS_9f8_fnuz_tEDF16_fDF16_DF16_NS_16tensor_operation12element_wise11PassThroughES9_S9_LNS7_6device18GemmSpecializationE0ELNS_25InMemoryDataOperationEnumE0ELi1ELi256ELi256ELi128ELi32ELi8ELi8ELi16ELi16ELi8ELi2ENS_8SequenceIJLi4ELi64ELi1EEEENSD_IJLi1ELi0ELi2EEEESF_Li2ELi8ELi8ELb0ELi1ESE_SF_SF_Li2ELi8ELi8ELb0ELi1ELi1ELi1ENSD_IJLi1ELi32ELi1ELi8EEEELi4ELNS_13LoopSchedulerE0ELNS_15PipelineVersionE0EDF16_DF16_EELb1EEEvNT_8ArgumentE.private_seg_size, 0
	.set _ZN2ck27kernel_gemm_xdl_cshuffle_v1INS_43GridwiseGemm_k0mk1_k0nk1_mn_xdl_cshuffle_v1INS_13tensor_layout4gemm8RowMajorENS3_11ColumnMajorES4_NS_9f8_fnuz_tEDF16_fDF16_DF16_NS_16tensor_operation12element_wise11PassThroughES9_S9_LNS7_6device18GemmSpecializationE0ELNS_25InMemoryDataOperationEnumE0ELi1ELi256ELi256ELi128ELi32ELi8ELi8ELi16ELi16ELi8ELi2ENS_8SequenceIJLi4ELi64ELi1EEEENSD_IJLi1ELi0ELi2EEEESF_Li2ELi8ELi8ELb0ELi1ESE_SF_SF_Li2ELi8ELi8ELb0ELi1ELi1ELi1ENSD_IJLi1ELi32ELi1ELi8EEEELi4ELNS_13LoopSchedulerE0ELNS_15PipelineVersionE0EDF16_DF16_EELb1EEEvNT_8ArgumentE.uses_vcc, 1
	.set _ZN2ck27kernel_gemm_xdl_cshuffle_v1INS_43GridwiseGemm_k0mk1_k0nk1_mn_xdl_cshuffle_v1INS_13tensor_layout4gemm8RowMajorENS3_11ColumnMajorES4_NS_9f8_fnuz_tEDF16_fDF16_DF16_NS_16tensor_operation12element_wise11PassThroughES9_S9_LNS7_6device18GemmSpecializationE0ELNS_25InMemoryDataOperationEnumE0ELi1ELi256ELi256ELi128ELi32ELi8ELi8ELi16ELi16ELi8ELi2ENS_8SequenceIJLi4ELi64ELi1EEEENSD_IJLi1ELi0ELi2EEEESF_Li2ELi8ELi8ELb0ELi1ESE_SF_SF_Li2ELi8ELi8ELb0ELi1ELi1ELi1ENSD_IJLi1ELi32ELi1ELi8EEEELi4ELNS_13LoopSchedulerE0ELNS_15PipelineVersionE0EDF16_DF16_EELb1EEEvNT_8ArgumentE.uses_flat_scratch, 0
	.set _ZN2ck27kernel_gemm_xdl_cshuffle_v1INS_43GridwiseGemm_k0mk1_k0nk1_mn_xdl_cshuffle_v1INS_13tensor_layout4gemm8RowMajorENS3_11ColumnMajorES4_NS_9f8_fnuz_tEDF16_fDF16_DF16_NS_16tensor_operation12element_wise11PassThroughES9_S9_LNS7_6device18GemmSpecializationE0ELNS_25InMemoryDataOperationEnumE0ELi1ELi256ELi256ELi128ELi32ELi8ELi8ELi16ELi16ELi8ELi2ENS_8SequenceIJLi4ELi64ELi1EEEENSD_IJLi1ELi0ELi2EEEESF_Li2ELi8ELi8ELb0ELi1ESE_SF_SF_Li2ELi8ELi8ELb0ELi1ELi1ELi1ENSD_IJLi1ELi32ELi1ELi8EEEELi4ELNS_13LoopSchedulerE0ELNS_15PipelineVersionE0EDF16_DF16_EELb1EEEvNT_8ArgumentE.has_dyn_sized_stack, 0
	.set _ZN2ck27kernel_gemm_xdl_cshuffle_v1INS_43GridwiseGemm_k0mk1_k0nk1_mn_xdl_cshuffle_v1INS_13tensor_layout4gemm8RowMajorENS3_11ColumnMajorES4_NS_9f8_fnuz_tEDF16_fDF16_DF16_NS_16tensor_operation12element_wise11PassThroughES9_S9_LNS7_6device18GemmSpecializationE0ELNS_25InMemoryDataOperationEnumE0ELi1ELi256ELi256ELi128ELi32ELi8ELi8ELi16ELi16ELi8ELi2ENS_8SequenceIJLi4ELi64ELi1EEEENSD_IJLi1ELi0ELi2EEEESF_Li2ELi8ELi8ELb0ELi1ESE_SF_SF_Li2ELi8ELi8ELb0ELi1ELi1ELi1ENSD_IJLi1ELi32ELi1ELi8EEEELi4ELNS_13LoopSchedulerE0ELNS_15PipelineVersionE0EDF16_DF16_EELb1EEEvNT_8ArgumentE.has_recursion, 0
	.set _ZN2ck27kernel_gemm_xdl_cshuffle_v1INS_43GridwiseGemm_k0mk1_k0nk1_mn_xdl_cshuffle_v1INS_13tensor_layout4gemm8RowMajorENS3_11ColumnMajorES4_NS_9f8_fnuz_tEDF16_fDF16_DF16_NS_16tensor_operation12element_wise11PassThroughES9_S9_LNS7_6device18GemmSpecializationE0ELNS_25InMemoryDataOperationEnumE0ELi1ELi256ELi256ELi128ELi32ELi8ELi8ELi16ELi16ELi8ELi2ENS_8SequenceIJLi4ELi64ELi1EEEENSD_IJLi1ELi0ELi2EEEESF_Li2ELi8ELi8ELb0ELi1ESE_SF_SF_Li2ELi8ELi8ELb0ELi1ELi1ELi1ENSD_IJLi1ELi32ELi1ELi8EEEELi4ELNS_13LoopSchedulerE0ELNS_15PipelineVersionE0EDF16_DF16_EELb1EEEvNT_8ArgumentE.has_indirect_call, 0
	.section	.AMDGPU.csdata,"",@progbits
; Kernel info:
; codeLenInByte = 26004
; TotalNumSgprs: 31
; NumVgprs: 224
; ScratchSize: 0
; MemoryBound: 0
; FloatMode: 240
; IeeeMode: 1
; LDSByteSize: 24672 bytes/workgroup (compile time only)
; SGPRBlocks: 0
; VGPRBlocks: 27
; NumSGPRsForWavesPerEU: 31
; NumVGPRsForWavesPerEU: 224
; Occupancy: 6
; WaveLimiterHint : 0
; COMPUTE_PGM_RSRC2:SCRATCH_EN: 0
; COMPUTE_PGM_RSRC2:USER_SGPR: 2
; COMPUTE_PGM_RSRC2:TRAP_HANDLER: 0
; COMPUTE_PGM_RSRC2:TGID_X_EN: 1
; COMPUTE_PGM_RSRC2:TGID_Y_EN: 0
; COMPUTE_PGM_RSRC2:TGID_Z_EN: 0
; COMPUTE_PGM_RSRC2:TIDIG_COMP_CNT: 0
	.section	.text._ZN2ck27kernel_gemm_xdl_cshuffle_v1INS_43GridwiseGemm_k0mk1_k0nk1_mn_xdl_cshuffle_v1INS_13tensor_layout4gemm8RowMajorENS3_11ColumnMajorES4_NS_9f8_fnuz_tEDF16_fDF16_DF16_NS_16tensor_operation12element_wise11PassThroughES9_S9_LNS7_6device18GemmSpecializationE0ELNS_25InMemoryDataOperationEnumE0ELi1ELi256ELi256ELi128ELi32ELi8ELi8ELi16ELi16ELi8ELi2ENS_8SequenceIJLi4ELi64ELi1EEEENSD_IJLi1ELi0ELi2EEEESF_Li2ELi8ELi8ELb0ELi1ESE_SF_SF_Li2ELi8ELi8ELb0ELi1ELi1ELi1ENSD_IJLi1ELi32ELi1ELi8EEEELi4ELNS_13LoopSchedulerE0ELNS_15PipelineVersionE0EDF16_DF16_EELb0EEEvNT_8ArgumentE,"axG",@progbits,_ZN2ck27kernel_gemm_xdl_cshuffle_v1INS_43GridwiseGemm_k0mk1_k0nk1_mn_xdl_cshuffle_v1INS_13tensor_layout4gemm8RowMajorENS3_11ColumnMajorES4_NS_9f8_fnuz_tEDF16_fDF16_DF16_NS_16tensor_operation12element_wise11PassThroughES9_S9_LNS7_6device18GemmSpecializationE0ELNS_25InMemoryDataOperationEnumE0ELi1ELi256ELi256ELi128ELi32ELi8ELi8ELi16ELi16ELi8ELi2ENS_8SequenceIJLi4ELi64ELi1EEEENSD_IJLi1ELi0ELi2EEEESF_Li2ELi8ELi8ELb0ELi1ESE_SF_SF_Li2ELi8ELi8ELb0ELi1ELi1ELi1ENSD_IJLi1ELi32ELi1ELi8EEEELi4ELNS_13LoopSchedulerE0ELNS_15PipelineVersionE0EDF16_DF16_EELb0EEEvNT_8ArgumentE,comdat
	.protected	_ZN2ck27kernel_gemm_xdl_cshuffle_v1INS_43GridwiseGemm_k0mk1_k0nk1_mn_xdl_cshuffle_v1INS_13tensor_layout4gemm8RowMajorENS3_11ColumnMajorES4_NS_9f8_fnuz_tEDF16_fDF16_DF16_NS_16tensor_operation12element_wise11PassThroughES9_S9_LNS7_6device18GemmSpecializationE0ELNS_25InMemoryDataOperationEnumE0ELi1ELi256ELi256ELi128ELi32ELi8ELi8ELi16ELi16ELi8ELi2ENS_8SequenceIJLi4ELi64ELi1EEEENSD_IJLi1ELi0ELi2EEEESF_Li2ELi8ELi8ELb0ELi1ESE_SF_SF_Li2ELi8ELi8ELb0ELi1ELi1ELi1ENSD_IJLi1ELi32ELi1ELi8EEEELi4ELNS_13LoopSchedulerE0ELNS_15PipelineVersionE0EDF16_DF16_EELb0EEEvNT_8ArgumentE ; -- Begin function _ZN2ck27kernel_gemm_xdl_cshuffle_v1INS_43GridwiseGemm_k0mk1_k0nk1_mn_xdl_cshuffle_v1INS_13tensor_layout4gemm8RowMajorENS3_11ColumnMajorES4_NS_9f8_fnuz_tEDF16_fDF16_DF16_NS_16tensor_operation12element_wise11PassThroughES9_S9_LNS7_6device18GemmSpecializationE0ELNS_25InMemoryDataOperationEnumE0ELi1ELi256ELi256ELi128ELi32ELi8ELi8ELi16ELi16ELi8ELi2ENS_8SequenceIJLi4ELi64ELi1EEEENSD_IJLi1ELi0ELi2EEEESF_Li2ELi8ELi8ELb0ELi1ESE_SF_SF_Li2ELi8ELi8ELb0ELi1ELi1ELi1ENSD_IJLi1ELi32ELi1ELi8EEEELi4ELNS_13LoopSchedulerE0ELNS_15PipelineVersionE0EDF16_DF16_EELb0EEEvNT_8ArgumentE
	.globl	_ZN2ck27kernel_gemm_xdl_cshuffle_v1INS_43GridwiseGemm_k0mk1_k0nk1_mn_xdl_cshuffle_v1INS_13tensor_layout4gemm8RowMajorENS3_11ColumnMajorES4_NS_9f8_fnuz_tEDF16_fDF16_DF16_NS_16tensor_operation12element_wise11PassThroughES9_S9_LNS7_6device18GemmSpecializationE0ELNS_25InMemoryDataOperationEnumE0ELi1ELi256ELi256ELi128ELi32ELi8ELi8ELi16ELi16ELi8ELi2ENS_8SequenceIJLi4ELi64ELi1EEEENSD_IJLi1ELi0ELi2EEEESF_Li2ELi8ELi8ELb0ELi1ESE_SF_SF_Li2ELi8ELi8ELb0ELi1ELi1ELi1ENSD_IJLi1ELi32ELi1ELi8EEEELi4ELNS_13LoopSchedulerE0ELNS_15PipelineVersionE0EDF16_DF16_EELb0EEEvNT_8ArgumentE
	.p2align	8
	.type	_ZN2ck27kernel_gemm_xdl_cshuffle_v1INS_43GridwiseGemm_k0mk1_k0nk1_mn_xdl_cshuffle_v1INS_13tensor_layout4gemm8RowMajorENS3_11ColumnMajorES4_NS_9f8_fnuz_tEDF16_fDF16_DF16_NS_16tensor_operation12element_wise11PassThroughES9_S9_LNS7_6device18GemmSpecializationE0ELNS_25InMemoryDataOperationEnumE0ELi1ELi256ELi256ELi128ELi32ELi8ELi8ELi16ELi16ELi8ELi2ENS_8SequenceIJLi4ELi64ELi1EEEENSD_IJLi1ELi0ELi2EEEESF_Li2ELi8ELi8ELb0ELi1ESE_SF_SF_Li2ELi8ELi8ELb0ELi1ELi1ELi1ENSD_IJLi1ELi32ELi1ELi8EEEELi4ELNS_13LoopSchedulerE0ELNS_15PipelineVersionE0EDF16_DF16_EELb0EEEvNT_8ArgumentE,@function
_ZN2ck27kernel_gemm_xdl_cshuffle_v1INS_43GridwiseGemm_k0mk1_k0nk1_mn_xdl_cshuffle_v1INS_13tensor_layout4gemm8RowMajorENS3_11ColumnMajorES4_NS_9f8_fnuz_tEDF16_fDF16_DF16_NS_16tensor_operation12element_wise11PassThroughES9_S9_LNS7_6device18GemmSpecializationE0ELNS_25InMemoryDataOperationEnumE0ELi1ELi256ELi256ELi128ELi32ELi8ELi8ELi16ELi16ELi8ELi2ENS_8SequenceIJLi4ELi64ELi1EEEENSD_IJLi1ELi0ELi2EEEESF_Li2ELi8ELi8ELb0ELi1ESE_SF_SF_Li2ELi8ELi8ELb0ELi1ELi1ELi1ENSD_IJLi1ELi32ELi1ELi8EEEELi4ELNS_13LoopSchedulerE0ELNS_15PipelineVersionE0EDF16_DF16_EELb0EEEvNT_8ArgumentE: ; @_ZN2ck27kernel_gemm_xdl_cshuffle_v1INS_43GridwiseGemm_k0mk1_k0nk1_mn_xdl_cshuffle_v1INS_13tensor_layout4gemm8RowMajorENS3_11ColumnMajorES4_NS_9f8_fnuz_tEDF16_fDF16_DF16_NS_16tensor_operation12element_wise11PassThroughES9_S9_LNS7_6device18GemmSpecializationE0ELNS_25InMemoryDataOperationEnumE0ELi1ELi256ELi256ELi128ELi32ELi8ELi8ELi16ELi16ELi8ELi2ENS_8SequenceIJLi4ELi64ELi1EEEENSD_IJLi1ELi0ELi2EEEESF_Li2ELi8ELi8ELb0ELi1ESE_SF_SF_Li2ELi8ELi8ELb0ELi1ELi1ELi1ENSD_IJLi1ELi32ELi1ELi8EEEELi4ELNS_13LoopSchedulerE0ELNS_15PipelineVersionE0EDF16_DF16_EELb0EEEvNT_8ArgumentE
; %bb.0:
	s_clause 0x1
	s_load_b128 s[4:7], s[0:1], 0x10
	s_load_b64 s[16:17], s[0:1], 0x20
	s_abs_i32 s11, ttmp9
	v_and_b32_e32 v8, 0xfc, v0
	v_and_b32_e32 v7, 3, v0
	s_mov_b32 s15, 0x31004000
	s_wait_kmcnt 0x0
	s_add_co_i32 s2, s4, 0xff
	s_add_co_i32 s3, s5, 0x7f
	s_ashr_i32 s8, s2, 31
	s_ashr_i32 s9, s3, 31
	s_lshr_b32 s8, s8, 24
	s_lshr_b32 s9, s9, 25
	s_add_co_i32 s2, s2, s8
	s_add_co_i32 s3, s3, s9
	s_ashr_i32 s2, s2, 8
	s_ashr_i32 s3, s3, 7
	s_mov_b32 s19, s6
	s_mul_i32 s8, s3, s2
	s_delay_alu instid0(SALU_CYCLE_1) | instskip(NEXT) | instid1(SALU_CYCLE_1)
	s_abs_i32 s8, s8
	s_cvt_f32_u32 s9, s8
	s_sub_co_i32 s10, 0, s8
	s_delay_alu instid0(SALU_CYCLE_2) | instskip(NEXT) | instid1(TRANS32_DEP_1)
	v_rcp_iflag_f32_e32 v1, s9
	v_readfirstlane_b32 s9, v1
	s_mul_f32 s9, s9, 0x4f7ffffe
	s_wait_alu 0xfffe
	s_delay_alu instid0(SALU_CYCLE_2) | instskip(SKIP_1) | instid1(SALU_CYCLE_2)
	s_cvt_u32_f32 s9, s9
	s_wait_alu 0xfffe
	s_mul_i32 s10, s10, s9
	s_delay_alu instid0(SALU_CYCLE_1) | instskip(NEXT) | instid1(SALU_CYCLE_1)
	s_mul_hi_u32 s10, s9, s10
	s_add_co_i32 s9, s9, s10
	s_ashr_i32 s10, ttmp9, 31
	s_wait_alu 0xfffe
	s_mul_hi_u32 s9, s11, s9
	s_wait_alu 0xfffe
	s_mul_i32 s9, s9, s8
	s_wait_alu 0xfffe
	s_sub_co_i32 s9, s11, s9
	s_wait_alu 0xfffe
	s_sub_co_i32 s11, s9, s8
	s_cmp_ge_u32 s9, s8
	s_cselect_b32 s9, s11, s9
	s_wait_alu 0xfffe
	s_sub_co_i32 s11, s9, s8
	s_cmp_ge_u32 s9, s8
	s_cselect_b32 s8, s11, s9
	s_abs_i32 s9, s3
	s_wait_alu 0xfffe
	s_xor_b32 s8, s8, s10
	s_cvt_f32_u32 s11, s9
	s_sub_co_i32 s12, 0, s9
	s_wait_alu 0xfffe
	s_sub_co_i32 s8, s8, s10
	v_rcp_iflag_f32_e32 v1, s11
	s_delay_alu instid0(TRANS32_DEP_1) | instskip(SKIP_2) | instid1(SALU_CYCLE_2)
	v_readfirstlane_b32 s11, v1
	s_mul_f32 s11, s11, 0x4f7ffffe
	s_wait_alu 0xfffe
	s_cvt_u32_f32 s11, s11
	s_wait_alu 0xfffe
	s_delay_alu instid0(SALU_CYCLE_2) | instskip(NEXT) | instid1(SALU_CYCLE_1)
	s_mul_i32 s12, s12, s11
	s_mul_hi_u32 s10, s11, s12
	s_abs_i32 s12, s8
	s_wait_alu 0xfffe
	s_add_co_i32 s11, s11, s10
	s_wait_alu 0xfffe
	s_mul_hi_u32 s10, s12, s11
	s_xor_b32 s11, s8, s3
	s_wait_alu 0xfffe
	s_mul_i32 s13, s10, s9
	s_ashr_i32 s11, s11, 31
	s_sub_co_i32 s12, s12, s13
	s_add_co_i32 s13, s10, 1
	s_sub_co_i32 s14, s12, s9
	s_cmp_ge_u32 s12, s9
	s_cselect_b32 s10, s13, s10
	s_cselect_b32 s12, s14, s12
	s_wait_alu 0xfffe
	s_add_co_i32 s13, s10, 1
	s_cmp_ge_u32 s12, s9
	s_cselect_b32 s9, s13, s10
	s_lshr_b32 s10, s2, 29
	s_wait_alu 0xfffe
	s_xor_b32 s9, s9, s11
	s_add_co_i32 s10, s2, s10
	s_wait_alu 0xfffe
	s_sub_co_i32 s9, s9, s11
	s_and_b32 s10, s10, -8
	s_wait_alu 0xfffe
	s_mul_i32 s13, s9, s3
	s_sub_co_i32 s2, s2, s10
	s_cmp_ge_i32 s9, s10
	s_cselect_b32 s2, s2, 8
	s_ashr_i32 s12, s9, 31
	s_abs_i32 s10, s2
	s_lshr_b32 s12, s12, 29
	s_wait_alu 0xfffe
	s_cvt_f32_u32 s11, s10
	s_add_co_i32 s12, s9, s12
	s_sub_co_i32 s8, s8, s13
	s_and_b32 s21, s12, -8
	s_wait_alu 0xfffe
	v_rcp_iflag_f32_e32 v1, s11
	s_sub_co_i32 s9, s9, s21
	s_sub_co_i32 s12, 0, s10
	s_wait_alu 0xfffe
	s_mul_i32 s3, s9, s3
	s_delay_alu instid0(SALU_CYCLE_1) | instskip(NEXT) | instid1(SALU_CYCLE_1)
	s_add_co_i32 s3, s3, s8
	s_abs_i32 s9, s3
	s_delay_alu instid0(TRANS32_DEP_1) | instskip(SKIP_3) | instid1(SALU_CYCLE_2)
	v_readfirstlane_b32 s11, v1
	v_lshlrev_b32_e32 v1, 3, v7
	s_mul_f32 s11, s11, 0x4f7ffffe
	s_wait_alu 0xfffe
	s_cvt_u32_f32 s11, s11
	s_wait_alu 0xfffe
	s_delay_alu instid0(SALU_CYCLE_2) | instskip(NEXT) | instid1(SALU_CYCLE_1)
	s_mul_i32 s12, s12, s11
	s_mul_hi_u32 s8, s11, s12
	s_wait_alu 0xfffe
	s_add_co_i32 s11, s11, s8
	s_wait_alu 0xfffe
	s_mul_hi_u32 s8, s9, s11
	s_xor_b32 s11, s3, s2
	s_wait_alu 0xfffe
	s_mul_i32 s12, s8, s10
	s_ashr_i32 s11, s11, 31
	s_sub_co_i32 s9, s9, s12
	s_add_co_i32 s12, s8, 1
	s_wait_alu 0xfffe
	s_sub_co_i32 s13, s9, s10
	s_cmp_ge_u32 s9, s10
	s_cselect_b32 s8, s12, s8
	s_cselect_b32 s9, s13, s9
	s_wait_alu 0xfffe
	s_add_co_i32 s12, s8, 1
	s_cmp_ge_u32 s9, s10
	s_cselect_b32 s8, s12, s8
	s_mov_b32 s12, s7
	s_wait_alu 0xfffe
	s_xor_b32 s8, s8, s11
	s_wait_alu 0xfffe
	s_sub_co_i32 s20, s8, s11
	s_load_b128 s[8:11], s[0:1], 0x48
	s_mul_i32 s2, s20, s2
	s_delay_alu instid0(SALU_CYCLE_1)
	s_sub_co_i32 s3, s3, s2
	s_mov_b32 s2, 0
	s_add_co_i32 s21, s21, s3
	s_mov_b32 s13, s2
	v_lshl_or_b32 v2, s21, 8, v8
	s_add_co_i32 s3, s4, -1
	s_mov_b32 s18, s2
	s_mul_u64 s[12:13], s[2:3], s[12:13]
	s_mov_b32 s4, s2
	v_mad_co_u64_u32 v[2:3], null, v2, s7, v[1:2]
	s_add_nc_u64 s[18:19], s[12:13], s[18:19]
	s_delay_alu instid0(SALU_CYCLE_1)
	s_mov_b32 s14, s19
	s_wait_kmcnt 0x0
	s_and_b32 s13, s9, 0xffff
	s_mov_b32 s12, s8
	s_mov_b32 s9, exec_lo
	buffer_load_b64 v[3:4], v2, s[12:15], null offen
	s_mov_b32 s12, -1
	s_wait_loadcnt 0x0
	v_and_b32_e32 v5, 0xff, v3
	s_delay_alu instid0(VALU_DEP_1)
	v_cmpx_lt_i16_e32 0x7f, v5
	s_xor_b32 s9, exec_lo, s9
	s_cbranch_execz .LBB4_4
; %bb.1:
	s_mov_b32 s4, exec_lo
	v_cmpx_eq_u16_e32 0x80, v5
; %bb.2:
	s_xor_b32 s12, exec_lo, -1
; %bb.3:
	s_or_b32 exec_lo, exec_lo, s4
	s_delay_alu instid0(SALU_CYCLE_1)
	s_and_b32 s4, s12, exec_lo
                                        ; implicit-def: $vgpr5
.LBB4_4:
	s_wait_alu 0xfffe
	s_or_saveexec_b32 s9, s9
	s_load_b64 s[0:1], s[0:1], 0x58
	v_mov_b32_e32 v9, 0x7c01
	s_xor_b32 exec_lo, exec_lo, s9
; %bb.5:
	v_cmp_ne_u16_e32 vcc_lo, 0, v5
	v_mov_b32_e32 v9, 0
	s_and_not1_b32 s4, s4, exec_lo
	s_and_b32 s12, vcc_lo, exec_lo
	s_delay_alu instid0(SALU_CYCLE_1)
	s_or_b32 s4, s4, s12
; %bb.6:
	s_or_b32 exec_lo, exec_lo, s9
	s_and_saveexec_b32 s9, s4
	s_cbranch_execz .LBB4_8
; %bb.7:
	v_lshrrev_b16 v9, 3, v3
	s_delay_alu instid0(VALU_DEP_1) | instskip(NEXT) | instid1(VALU_DEP_1)
	v_and_b32_e32 v9, 15, v9
	v_and_b32_e32 v11, 0xffff, v9
	v_cmp_eq_u16_e32 vcc_lo, 0, v9
	v_and_b32_e32 v5, 7, v3
	v_lshlrev_b32_e32 v9, 8, v3
	s_delay_alu instid0(VALU_DEP_2) | instskip(NEXT) | instid1(VALU_DEP_2)
	v_clz_i32_u32_e32 v6, v5
	v_and_b32_e32 v9, 0x8000, v9
	s_delay_alu instid0(VALU_DEP_2) | instskip(NEXT) | instid1(VALU_DEP_1)
	v_min_u32_e32 v6, 32, v6
	v_subrev_nc_u32_e32 v10, 28, v6
	v_sub_nc_u32_e32 v6, 29, v6
	s_delay_alu instid0(VALU_DEP_2) | instskip(NEXT) | instid1(VALU_DEP_2)
	v_lshlrev_b32_e32 v10, v10, v3
	v_cndmask_b32_e32 v6, v11, v6, vcc_lo
	s_delay_alu instid0(VALU_DEP_2) | instskip(NEXT) | instid1(VALU_DEP_2)
	v_and_b32_e32 v10, 7, v10
	v_lshl_add_u32 v6, v6, 10, 0x1c00
	s_delay_alu instid0(VALU_DEP_2) | instskip(NEXT) | instid1(VALU_DEP_1)
	v_cndmask_b32_e32 v5, v5, v10, vcc_lo
	v_lshlrev_b32_e32 v5, 7, v5
	s_delay_alu instid0(VALU_DEP_1)
	v_or3_b32 v9, v9, v6, v5
.LBB4_8:
	s_wait_alu 0xfffe
	s_or_b32 exec_lo, exec_lo, s9
	v_lshrrev_b32_e32 v11, 8, v3
	s_mov_b32 s4, 0
	s_mov_b32 s9, exec_lo
	s_delay_alu instid0(VALU_DEP_1) | instskip(NEXT) | instid1(VALU_DEP_1)
	v_and_b32_e32 v5, 0xff, v11
	v_cmpx_lt_i16_e32 0x7f, v5
	s_wait_alu 0xfffe
	s_xor_b32 s9, exec_lo, s9
	s_cbranch_execz .LBB4_12
; %bb.9:
	s_mov_b32 s4, -1
	s_mov_b32 s12, exec_lo
	v_cmpx_eq_u16_e32 0x80, v5
; %bb.10:
	s_xor_b32 s4, exec_lo, -1
; %bb.11:
	s_or_b32 exec_lo, exec_lo, s12
	s_delay_alu instid0(SALU_CYCLE_1)
	s_and_b32 s4, s4, exec_lo
                                        ; implicit-def: $vgpr5
.LBB4_12:
	s_wait_alu 0xfffe
	s_or_saveexec_b32 s9, s9
	v_mov_b32_e32 v10, 0x7c01
	s_wait_alu 0xfffe
	s_xor_b32 exec_lo, exec_lo, s9
; %bb.13:
	v_cmp_ne_u16_e32 vcc_lo, 0, v5
	v_mov_b32_e32 v10, 0
	s_and_not1_b32 s4, s4, exec_lo
	s_and_b32 s12, vcc_lo, exec_lo
	s_delay_alu instid0(SALU_CYCLE_1)
	s_or_b32 s4, s4, s12
; %bb.14:
	s_or_b32 exec_lo, exec_lo, s9
	v_lshrrev_b64 v[5:6], 24, v[3:4]
	v_lshrrev_b32_e32 v16, 24, v4
	v_lshrrev_b32_e32 v15, 16, v4
	v_lshrrev_b32_e32 v14, 8, v4
	v_lshrrev_b32_e32 v3, 16, v3
	s_and_saveexec_b32 s9, s4
	s_cbranch_execz .LBB4_16
; %bb.15:
	v_and_b32_e32 v6, 7, v11
	v_lshrrev_b16 v12, 3, v11
	v_lshrrev_b16 v11, 7, v11
	s_delay_alu instid0(VALU_DEP_3) | instskip(NEXT) | instid1(VALU_DEP_3)
	v_clz_i32_u32_e32 v10, v6
	v_and_b32_e32 v12, 15, v12
	s_delay_alu instid0(VALU_DEP_3) | instskip(NEXT) | instid1(VALU_DEP_3)
	v_and_b32_e32 v11, 1, v11
	v_min_u32_e32 v10, 32, v10
	s_delay_alu instid0(VALU_DEP_3) | instskip(NEXT) | instid1(VALU_DEP_3)
	v_cmp_eq_u16_e32 vcc_lo, 0, v12
	v_lshlrev_b32_e32 v11, 15, v11
	s_delay_alu instid0(VALU_DEP_3) | instskip(SKIP_1) | instid1(VALU_DEP_2)
	v_subrev_nc_u32_e32 v13, 28, v10
	v_sub_nc_u32_e32 v10, 29, v10
	v_lshlrev_b32_e32 v13, v13, v6
	s_delay_alu instid0(VALU_DEP_1) | instskip(SKIP_1) | instid1(VALU_DEP_1)
	v_and_b32_e32 v13, 7, v13
	s_wait_alu 0xfffd
	v_dual_cndmask_b32 v6, v6, v13 :: v_dual_and_b32 v17, 0xffff, v12
	s_delay_alu instid0(VALU_DEP_1) | instskip(NEXT) | instid1(VALU_DEP_2)
	v_cndmask_b32_e32 v10, v17, v10, vcc_lo
	v_lshlrev_b32_e32 v6, 7, v6
	s_delay_alu instid0(VALU_DEP_2) | instskip(NEXT) | instid1(VALU_DEP_1)
	v_lshl_add_u32 v10, v10, 10, 0x1c00
	v_or3_b32 v10, v11, v10, v6
.LBB4_16:
	s_wait_alu 0xfffe
	s_or_b32 exec_lo, exec_lo, s9
	v_and_b32_e32 v11, 0xff, v3
	s_mov_b32 s4, 0
	s_mov_b32 s9, exec_lo
	s_delay_alu instid0(VALU_DEP_1)
	v_cmpx_lt_i16_e32 0x7f, v11
	s_wait_alu 0xfffe
	s_xor_b32 s9, exec_lo, s9
	s_cbranch_execnz .LBB4_149
; %bb.17:
	s_wait_alu 0xfffe
	s_or_saveexec_b32 s9, s9
	v_mov_b32_e32 v6, 0x7c01
	s_wait_alu 0xfffe
	s_xor_b32 exec_lo, exec_lo, s9
	s_cbranch_execnz .LBB4_152
.LBB4_18:
	s_or_b32 exec_lo, exec_lo, s9
	s_and_saveexec_b32 s9, s4
	s_cbranch_execz .LBB4_20
.LBB4_19:
	v_and_b32_e32 v6, 7, v3
	v_lshrrev_b16 v12, 3, v3
	v_lshrrev_b16 v3, 7, v3
	s_delay_alu instid0(VALU_DEP_3) | instskip(NEXT) | instid1(VALU_DEP_2)
	v_clz_i32_u32_e32 v11, v6
	v_and_b32_e32 v3, 1, v3
	s_delay_alu instid0(VALU_DEP_2) | instskip(NEXT) | instid1(VALU_DEP_2)
	v_min_u32_e32 v11, 32, v11
	v_lshlrev_b32_e32 v3, 15, v3
	s_delay_alu instid0(VALU_DEP_2) | instskip(SKIP_2) | instid1(VALU_DEP_3)
	v_subrev_nc_u32_e32 v13, 28, v11
	v_sub_nc_u32_e32 v11, 29, v11
	v_and_b32_e32 v12, 15, v12
	v_lshlrev_b32_e32 v13, v13, v6
	s_delay_alu instid0(VALU_DEP_2) | instskip(NEXT) | instid1(VALU_DEP_2)
	v_cmp_eq_u16_e32 vcc_lo, 0, v12
	v_and_b32_e32 v13, 7, v13
	s_wait_alu 0xfffd
	s_delay_alu instid0(VALU_DEP_1) | instskip(NEXT) | instid1(VALU_DEP_1)
	v_dual_cndmask_b32 v6, v6, v13 :: v_dual_and_b32 v17, 0xffff, v12
	v_dual_cndmask_b32 v11, v17, v11 :: v_dual_lshlrev_b32 v6, 7, v6
	s_delay_alu instid0(VALU_DEP_1) | instskip(NEXT) | instid1(VALU_DEP_1)
	v_lshl_add_u32 v11, v11, 10, 0x1c00
	v_or3_b32 v6, v3, v11, v6
.LBB4_20:
	s_wait_alu 0xfffe
	s_or_b32 exec_lo, exec_lo, s9
	v_and_b32_e32 v3, 0xff, v5
	s_mov_b32 s4, 0
	s_mov_b32 s9, exec_lo
	s_delay_alu instid0(VALU_DEP_1)
	v_cmpx_lt_i16_e32 0x7f, v3
	s_wait_alu 0xfffe
	s_xor_b32 s9, exec_lo, s9
	s_cbranch_execnz .LBB4_153
; %bb.21:
	s_wait_alu 0xfffe
	s_or_saveexec_b32 s9, s9
	v_mov_b32_e32 v11, 0x7c01
	s_wait_alu 0xfffe
	s_xor_b32 exec_lo, exec_lo, s9
	s_cbranch_execnz .LBB4_156
.LBB4_22:
	s_or_b32 exec_lo, exec_lo, s9
	s_and_saveexec_b32 s9, s4
	s_cbranch_execz .LBB4_24
.LBB4_23:
	v_and_b32_e32 v3, 7, v5
	v_lshrrev_b16 v12, 3, v5
	v_lshrrev_b16 v5, 7, v5
	s_delay_alu instid0(VALU_DEP_3) | instskip(NEXT) | instid1(VALU_DEP_2)
	v_clz_i32_u32_e32 v11, v3
	v_and_b32_e32 v5, 1, v5
	s_delay_alu instid0(VALU_DEP_2) | instskip(NEXT) | instid1(VALU_DEP_2)
	v_min_u32_e32 v11, 32, v11
	v_lshlrev_b32_e32 v5, 15, v5
	s_delay_alu instid0(VALU_DEP_2) | instskip(SKIP_1) | instid1(VALU_DEP_2)
	v_subrev_nc_u32_e32 v13, 28, v11
	v_sub_nc_u32_e32 v11, 29, v11
	v_lshlrev_b32_e32 v13, v13, v3
	s_delay_alu instid0(VALU_DEP_1) | instskip(SKIP_1) | instid1(VALU_DEP_1)
	v_and_b32_e32 v13, 7, v13
	v_and_b32_e32 v12, 15, v12
	v_cmp_eq_u16_e32 vcc_lo, 0, v12
	s_wait_alu 0xfffd
	s_delay_alu instid0(VALU_DEP_3) | instskip(SKIP_1) | instid1(VALU_DEP_2)
	v_cndmask_b32_e32 v3, v3, v13, vcc_lo
	v_and_b32_e32 v17, 0xffff, v12
	v_lshlrev_b32_e32 v3, 7, v3
	s_delay_alu instid0(VALU_DEP_2) | instskip(NEXT) | instid1(VALU_DEP_1)
	v_cndmask_b32_e32 v11, v17, v11, vcc_lo
	v_lshl_add_u32 v11, v11, 10, 0x1c00
	s_delay_alu instid0(VALU_DEP_1)
	v_or3_b32 v11, v5, v11, v3
.LBB4_24:
	s_wait_alu 0xfffe
	s_or_b32 exec_lo, exec_lo, s9
	v_and_b32_e32 v3, 0xff, v4
	s_mov_b32 s4, 0
	s_mov_b32 s9, exec_lo
	s_delay_alu instid0(VALU_DEP_1)
	v_cmpx_lt_i16_e32 0x7f, v3
	s_wait_alu 0xfffe
	s_xor_b32 s9, exec_lo, s9
	s_cbranch_execnz .LBB4_157
; %bb.25:
	s_wait_alu 0xfffe
	s_or_saveexec_b32 s9, s9
	v_mov_b32_e32 v12, 0x7c01
	s_wait_alu 0xfffe
	s_xor_b32 exec_lo, exec_lo, s9
	s_cbranch_execnz .LBB4_160
.LBB4_26:
	s_or_b32 exec_lo, exec_lo, s9
	s_and_saveexec_b32 s9, s4
	s_cbranch_execz .LBB4_28
.LBB4_27:
	v_and_b32_e32 v3, 7, v4
	v_lshrrev_b16 v12, 3, v4
	s_delay_alu instid0(VALU_DEP_2) | instskip(NEXT) | instid1(VALU_DEP_1)
	v_clz_i32_u32_e32 v5, v3
	v_min_u32_e32 v5, 32, v5
	s_delay_alu instid0(VALU_DEP_1) | instskip(SKIP_1) | instid1(VALU_DEP_2)
	v_subrev_nc_u32_e32 v13, 28, v5
	v_sub_nc_u32_e32 v5, 29, v5
	v_lshlrev_b32_e32 v13, v13, v4
	s_delay_alu instid0(VALU_DEP_1) | instskip(SKIP_1) | instid1(VALU_DEP_1)
	v_and_b32_e32 v13, 7, v13
	v_and_b32_e32 v12, 15, v12
	v_cmp_eq_u16_e32 vcc_lo, 0, v12
	s_wait_alu 0xfffd
	s_delay_alu instid0(VALU_DEP_3) | instskip(SKIP_2) | instid1(VALU_DEP_3)
	v_cndmask_b32_e32 v3, v3, v13, vcc_lo
	v_and_b32_e32 v17, 0xffff, v12
	v_lshlrev_b32_e32 v4, 8, v4
	v_lshlrev_b32_e32 v3, 7, v3
	s_delay_alu instid0(VALU_DEP_2) | instskip(NEXT) | instid1(VALU_DEP_1)
	v_dual_cndmask_b32 v5, v17, v5 :: v_dual_and_b32 v4, 0x8000, v4
	v_lshl_add_u32 v5, v5, 10, 0x1c00
	s_delay_alu instid0(VALU_DEP_1)
	v_or3_b32 v12, v4, v5, v3
.LBB4_28:
	s_wait_alu 0xfffe
	s_or_b32 exec_lo, exec_lo, s9
	v_and_b32_e32 v3, 0xff, v14
	s_mov_b32 s4, 0
	s_mov_b32 s9, exec_lo
	s_delay_alu instid0(VALU_DEP_1)
	v_cmpx_lt_i16_e32 0x7f, v3
	s_wait_alu 0xfffe
	s_xor_b32 s9, exec_lo, s9
	s_cbranch_execnz .LBB4_161
; %bb.29:
	s_wait_alu 0xfffe
	s_or_saveexec_b32 s9, s9
	v_mov_b32_e32 v13, 0x7c01
	s_wait_alu 0xfffe
	s_xor_b32 exec_lo, exec_lo, s9
	s_cbranch_execnz .LBB4_164
.LBB4_30:
	s_or_b32 exec_lo, exec_lo, s9
	s_and_saveexec_b32 s9, s4
	s_cbranch_execz .LBB4_32
.LBB4_31:
	v_lshrrev_b16 v5, 3, v14
	s_delay_alu instid0(VALU_DEP_1) | instskip(NEXT) | instid1(VALU_DEP_1)
	v_and_b32_e32 v5, 15, v5
	v_and_b32_e32 v17, 0xffff, v5
	v_cmp_eq_u16_e32 vcc_lo, 0, v5
	v_and_b32_e32 v3, 7, v14
	v_lshrrev_b16 v14, 7, v14
	s_delay_alu instid0(VALU_DEP_2) | instskip(NEXT) | instid1(VALU_DEP_2)
	v_clz_i32_u32_e32 v4, v3
	v_and_b32_e32 v5, 1, v14
	s_delay_alu instid0(VALU_DEP_2) | instskip(NEXT) | instid1(VALU_DEP_2)
	v_min_u32_e32 v4, 32, v4
	v_lshlrev_b32_e32 v5, 15, v5
	s_delay_alu instid0(VALU_DEP_2) | instskip(SKIP_2) | instid1(VALU_DEP_1)
	v_subrev_nc_u32_e32 v13, 28, v4
	v_sub_nc_u32_e32 v4, 29, v4
	s_wait_alu 0xfffd
	v_cndmask_b32_e32 v4, v17, v4, vcc_lo
	s_delay_alu instid0(VALU_DEP_3) | instskip(NEXT) | instid1(VALU_DEP_2)
	v_lshlrev_b32_e32 v13, v13, v3
	v_lshl_add_u32 v4, v4, 10, 0x1c00
	s_delay_alu instid0(VALU_DEP_2) | instskip(NEXT) | instid1(VALU_DEP_1)
	v_and_b32_e32 v13, 7, v13
	v_cndmask_b32_e32 v3, v3, v13, vcc_lo
	s_delay_alu instid0(VALU_DEP_1) | instskip(NEXT) | instid1(VALU_DEP_1)
	v_lshlrev_b32_e32 v3, 7, v3
	v_or3_b32 v13, v5, v4, v3
.LBB4_32:
	s_wait_alu 0xfffe
	s_or_b32 exec_lo, exec_lo, s9
	v_and_b32_e32 v3, 0xff, v15
	s_mov_b32 s4, 0
	s_mov_b32 s9, exec_lo
	s_delay_alu instid0(VALU_DEP_1)
	v_cmpx_lt_i16_e32 0x7f, v3
	s_wait_alu 0xfffe
	s_xor_b32 s9, exec_lo, s9
	s_cbranch_execnz .LBB4_165
; %bb.33:
	s_wait_alu 0xfffe
	s_or_saveexec_b32 s9, s9
	v_mov_b32_e32 v14, 0x7c01
	s_wait_alu 0xfffe
	s_xor_b32 exec_lo, exec_lo, s9
	s_cbranch_execnz .LBB4_168
.LBB4_34:
	s_or_b32 exec_lo, exec_lo, s9
	s_and_saveexec_b32 s9, s4
	s_cbranch_execz .LBB4_36
.LBB4_35:
	v_lshrrev_b16 v5, 3, v15
	s_delay_alu instid0(VALU_DEP_1) | instskip(NEXT) | instid1(VALU_DEP_1)
	v_and_b32_e32 v5, 15, v5
	v_and_b32_e32 v17, 0xffff, v5
	v_cmp_eq_u16_e32 vcc_lo, 0, v5
	v_and_b32_e32 v3, 7, v15
	v_lshrrev_b16 v15, 7, v15
	s_delay_alu instid0(VALU_DEP_2) | instskip(NEXT) | instid1(VALU_DEP_2)
	v_clz_i32_u32_e32 v4, v3
	v_and_b32_e32 v5, 1, v15
	s_delay_alu instid0(VALU_DEP_2) | instskip(NEXT) | instid1(VALU_DEP_2)
	v_min_u32_e32 v4, 32, v4
	v_lshlrev_b32_e32 v5, 15, v5
	s_delay_alu instid0(VALU_DEP_2) | instskip(SKIP_2) | instid1(VALU_DEP_1)
	v_subrev_nc_u32_e32 v14, 28, v4
	v_sub_nc_u32_e32 v4, 29, v4
	s_wait_alu 0xfffd
	v_cndmask_b32_e32 v4, v17, v4, vcc_lo
	s_delay_alu instid0(VALU_DEP_3) | instskip(NEXT) | instid1(VALU_DEP_2)
	v_lshlrev_b32_e32 v14, v14, v3
	v_lshl_add_u32 v4, v4, 10, 0x1c00
	s_delay_alu instid0(VALU_DEP_2) | instskip(NEXT) | instid1(VALU_DEP_1)
	v_and_b32_e32 v14, 7, v14
	v_cndmask_b32_e32 v3, v3, v14, vcc_lo
	s_delay_alu instid0(VALU_DEP_1) | instskip(NEXT) | instid1(VALU_DEP_1)
	v_lshlrev_b32_e32 v3, 7, v3
	v_or3_b32 v14, v5, v4, v3
.LBB4_36:
	s_wait_alu 0xfffe
	s_or_b32 exec_lo, exec_lo, s9
	s_mov_b32 s9, 0
	s_mov_b32 s4, exec_lo
	v_cmpx_lt_i16_e32 0x7f, v16
	s_xor_b32 s4, exec_lo, s4
	s_cbranch_execnz .LBB4_169
; %bb.37:
	s_or_saveexec_b32 s4, s4
	v_mov_b32_e32 v15, 0x7c01
	s_xor_b32 exec_lo, exec_lo, s4
	s_cbranch_execnz .LBB4_172
.LBB4_38:
	s_or_b32 exec_lo, exec_lo, s4
	s_wait_alu 0xfffe
	s_and_saveexec_b32 s4, s9
	s_cbranch_execz .LBB4_40
.LBB4_39:
	v_and_b32_e32 v3, 7, v16
	v_lshrrev_b16 v5, 3, v16
	s_delay_alu instid0(VALU_DEP_2) | instskip(NEXT) | instid1(VALU_DEP_1)
	v_clz_i32_u32_e32 v4, v3
	v_min_u32_e32 v4, 32, v4
	s_delay_alu instid0(VALU_DEP_1) | instskip(SKIP_2) | instid1(VALU_DEP_3)
	v_subrev_nc_u32_e32 v15, 28, v4
	v_sub_nc_u32_e32 v4, 29, v4
	v_and_b32_e32 v5, 15, v5
	v_lshlrev_b32_e32 v15, v15, v3
	s_delay_alu instid0(VALU_DEP_2) | instskip(SKIP_3) | instid1(VALU_DEP_3)
	v_and_b32_e32 v17, 0xffff, v5
	v_cmp_eq_u16_e32 vcc_lo, 0, v5
	v_lshrrev_b16 v5, 7, v16
	s_wait_alu 0xfffd
	v_dual_cndmask_b32 v4, v17, v4 :: v_dual_and_b32 v15, 7, v15
	s_delay_alu instid0(VALU_DEP_2) | instskip(NEXT) | instid1(VALU_DEP_2)
	v_lshlrev_b32_e32 v5, 15, v5
	v_cndmask_b32_e32 v3, v3, v15, vcc_lo
	s_delay_alu instid0(VALU_DEP_3) | instskip(NEXT) | instid1(VALU_DEP_2)
	v_lshl_add_u32 v4, v4, 10, 0x1c00
	v_lshlrev_b32_e32 v3, 7, v3
	s_delay_alu instid0(VALU_DEP_1)
	v_or3_b32 v15, v5, v4, v3
.LBB4_40:
	s_or_b32 exec_lo, exec_lo, s4
	v_add_nc_u32_e32 v24, s7, v2
	s_mov_b32 s12, s8
	s_mov_b32 s14, s19
	;; [unrolled: 1-line block ×3, first 2 shown]
	s_mov_b32 s9, exec_lo
	buffer_load_b64 v[2:3], v24, s[12:15], null offen
	s_wait_loadcnt 0x0
	v_and_b32_e32 v4, 0xff, v2
	s_delay_alu instid0(VALU_DEP_1)
	v_cmpx_lt_i16_e32 0x7f, v4
	s_xor_b32 s9, exec_lo, s9
	s_cbranch_execnz .LBB4_173
; %bb.41:
	s_wait_alu 0xfffe
	s_or_saveexec_b32 s9, s9
	v_mov_b32_e32 v16, 0x7c01
	s_wait_alu 0xfffe
	s_xor_b32 exec_lo, exec_lo, s9
	s_cbranch_execnz .LBB4_176
.LBB4_42:
	s_or_b32 exec_lo, exec_lo, s9
	s_and_saveexec_b32 s9, s4
	s_cbranch_execz .LBB4_44
.LBB4_43:
	v_lshrrev_b16 v16, 3, v2
	s_delay_alu instid0(VALU_DEP_1) | instskip(NEXT) | instid1(VALU_DEP_1)
	v_and_b32_e32 v16, 15, v16
	v_and_b32_e32 v18, 0xffff, v16
	v_cmp_eq_u16_e32 vcc_lo, 0, v16
	v_and_b32_e32 v4, 7, v2
	v_lshlrev_b32_e32 v16, 8, v2
	s_delay_alu instid0(VALU_DEP_2) | instskip(NEXT) | instid1(VALU_DEP_2)
	v_clz_i32_u32_e32 v5, v4
	v_and_b32_e32 v16, 0x8000, v16
	s_delay_alu instid0(VALU_DEP_2) | instskip(NEXT) | instid1(VALU_DEP_1)
	v_min_u32_e32 v5, 32, v5
	v_subrev_nc_u32_e32 v17, 28, v5
	v_sub_nc_u32_e32 v5, 29, v5
	s_delay_alu instid0(VALU_DEP_2) | instskip(SKIP_1) | instid1(VALU_DEP_2)
	v_lshlrev_b32_e32 v17, v17, v2
	s_wait_alu 0xfffd
	v_cndmask_b32_e32 v5, v18, v5, vcc_lo
	s_delay_alu instid0(VALU_DEP_2) | instskip(NEXT) | instid1(VALU_DEP_2)
	v_and_b32_e32 v17, 7, v17
	v_lshl_add_u32 v5, v5, 10, 0x1c00
	s_delay_alu instid0(VALU_DEP_2) | instskip(NEXT) | instid1(VALU_DEP_1)
	v_cndmask_b32_e32 v4, v4, v17, vcc_lo
	v_lshlrev_b32_e32 v4, 7, v4
	s_delay_alu instid0(VALU_DEP_1)
	v_or3_b32 v16, v16, v5, v4
.LBB4_44:
	s_wait_alu 0xfffe
	s_or_b32 exec_lo, exec_lo, s9
	v_lshrrev_b32_e32 v18, 8, v2
	s_mov_b32 s4, 0
	s_mov_b32 s9, exec_lo
	s_delay_alu instid0(VALU_DEP_1) | instskip(NEXT) | instid1(VALU_DEP_1)
	v_and_b32_e32 v4, 0xff, v18
	v_cmpx_lt_i16_e32 0x7f, v4
	s_wait_alu 0xfffe
	s_xor_b32 s9, exec_lo, s9
	s_cbranch_execz .LBB4_48
; %bb.45:
	s_mov_b32 s4, -1
	s_mov_b32 s12, exec_lo
	v_cmpx_eq_u16_e32 0x80, v4
; %bb.46:
	s_xor_b32 s4, exec_lo, -1
; %bb.47:
	s_or_b32 exec_lo, exec_lo, s12
	s_delay_alu instid0(SALU_CYCLE_1)
	s_and_b32 s4, s4, exec_lo
                                        ; implicit-def: $vgpr4
.LBB4_48:
	s_wait_alu 0xfffe
	s_or_saveexec_b32 s9, s9
	v_mov_b32_e32 v17, 0x7c01
	s_wait_alu 0xfffe
	s_xor_b32 exec_lo, exec_lo, s9
; %bb.49:
	v_cmp_ne_u16_e32 vcc_lo, 0, v4
	v_mov_b32_e32 v17, 0
	s_and_not1_b32 s4, s4, exec_lo
	s_and_b32 s12, vcc_lo, exec_lo
	s_delay_alu instid0(SALU_CYCLE_1)
	s_or_b32 s4, s4, s12
; %bb.50:
	s_or_b32 exec_lo, exec_lo, s9
	v_lshrrev_b64 v[4:5], 24, v[2:3]
	v_lshrrev_b32_e32 v5, 24, v3
	v_lshrrev_b32_e32 v23, 16, v3
	;; [unrolled: 1-line block ×4, first 2 shown]
	s_and_saveexec_b32 s9, s4
	s_cbranch_execz .LBB4_52
; %bb.51:
	v_and_b32_e32 v17, 7, v18
	v_lshrrev_b16 v20, 3, v18
	v_lshrrev_b16 v18, 7, v18
	s_delay_alu instid0(VALU_DEP_3) | instskip(NEXT) | instid1(VALU_DEP_1)
	v_clz_i32_u32_e32 v19, v17
	v_min_u32_e32 v19, 32, v19
	s_delay_alu instid0(VALU_DEP_1) | instskip(SKIP_1) | instid1(VALU_DEP_2)
	v_subrev_nc_u32_e32 v21, 28, v19
	v_sub_nc_u32_e32 v19, 29, v19
	v_lshlrev_b32_e32 v21, v21, v17
	s_delay_alu instid0(VALU_DEP_1) | instskip(SKIP_1) | instid1(VALU_DEP_1)
	v_and_b32_e32 v21, 7, v21
	v_and_b32_e32 v20, 15, v20
	v_cmp_eq_u16_e32 vcc_lo, 0, v20
	s_wait_alu 0xfffd
	s_delay_alu instid0(VALU_DEP_3) | instskip(SKIP_2) | instid1(VALU_DEP_3)
	v_cndmask_b32_e32 v17, v17, v21, vcc_lo
	v_and_b32_e32 v25, 0xffff, v20
	v_and_b32_e32 v18, 1, v18
	v_lshlrev_b32_e32 v17, 7, v17
	s_delay_alu instid0(VALU_DEP_2) | instskip(NEXT) | instid1(VALU_DEP_1)
	v_dual_cndmask_b32 v19, v25, v19 :: v_dual_lshlrev_b32 v18, 15, v18
	v_lshl_add_u32 v19, v19, 10, 0x1c00
	s_delay_alu instid0(VALU_DEP_1)
	v_or3_b32 v17, v18, v19, v17
.LBB4_52:
	s_wait_alu 0xfffe
	s_or_b32 exec_lo, exec_lo, s9
	v_and_b32_e32 v19, 0xff, v2
	s_mov_b32 s4, 0
	s_mov_b32 s9, exec_lo
	s_delay_alu instid0(VALU_DEP_1)
	v_cmpx_lt_i16_e32 0x7f, v19
	s_wait_alu 0xfffe
	s_xor_b32 s9, exec_lo, s9
	s_cbranch_execnz .LBB4_177
; %bb.53:
	s_wait_alu 0xfffe
	s_or_saveexec_b32 s9, s9
	v_mov_b32_e32 v18, 0x7c01
	s_wait_alu 0xfffe
	s_xor_b32 exec_lo, exec_lo, s9
	s_cbranch_execnz .LBB4_180
.LBB4_54:
	s_or_b32 exec_lo, exec_lo, s9
	s_and_saveexec_b32 s9, s4
	s_cbranch_execz .LBB4_56
.LBB4_55:
	v_lshrrev_b16 v20, 3, v2
	s_delay_alu instid0(VALU_DEP_1) | instskip(NEXT) | instid1(VALU_DEP_1)
	v_and_b32_e32 v20, 15, v20
	v_cmp_eq_u16_e32 vcc_lo, 0, v20
	v_and_b32_e32 v25, 0xffff, v20
	v_and_b32_e32 v18, 7, v2
	v_lshrrev_b16 v2, 7, v2
	s_delay_alu instid0(VALU_DEP_2) | instskip(NEXT) | instid1(VALU_DEP_2)
	v_clz_i32_u32_e32 v19, v18
	v_and_b32_e32 v2, 1, v2
	s_delay_alu instid0(VALU_DEP_2) | instskip(NEXT) | instid1(VALU_DEP_2)
	v_min_u32_e32 v19, 32, v19
	v_lshlrev_b32_e32 v2, 15, v2
	s_delay_alu instid0(VALU_DEP_2) | instskip(SKIP_2) | instid1(VALU_DEP_1)
	v_subrev_nc_u32_e32 v21, 28, v19
	v_sub_nc_u32_e32 v19, 29, v19
	s_wait_alu 0xfffd
	v_cndmask_b32_e32 v19, v25, v19, vcc_lo
	s_delay_alu instid0(VALU_DEP_3) | instskip(NEXT) | instid1(VALU_DEP_2)
	v_lshlrev_b32_e32 v21, v21, v18
	v_lshl_add_u32 v19, v19, 10, 0x1c00
	s_delay_alu instid0(VALU_DEP_2) | instskip(NEXT) | instid1(VALU_DEP_1)
	v_and_b32_e32 v21, 7, v21
	v_cndmask_b32_e32 v18, v18, v21, vcc_lo
	s_delay_alu instid0(VALU_DEP_1) | instskip(NEXT) | instid1(VALU_DEP_1)
	v_lshlrev_b32_e32 v18, 7, v18
	v_or3_b32 v18, v2, v19, v18
.LBB4_56:
	s_wait_alu 0xfffe
	s_or_b32 exec_lo, exec_lo, s9
	v_and_b32_e32 v2, 0xff, v4
	s_mov_b32 s4, 0
	s_mov_b32 s9, exec_lo
	s_delay_alu instid0(VALU_DEP_1)
	v_cmpx_lt_i16_e32 0x7f, v2
	s_wait_alu 0xfffe
	s_xor_b32 s9, exec_lo, s9
	s_cbranch_execnz .LBB4_181
; %bb.57:
	s_wait_alu 0xfffe
	s_or_saveexec_b32 s9, s9
	v_mov_b32_e32 v19, 0x7c01
	s_wait_alu 0xfffe
	s_xor_b32 exec_lo, exec_lo, s9
	s_cbranch_execnz .LBB4_184
.LBB4_58:
	s_or_b32 exec_lo, exec_lo, s9
	s_and_saveexec_b32 s9, s4
	s_cbranch_execz .LBB4_60
.LBB4_59:
	v_lshrrev_b16 v20, 3, v4
	s_delay_alu instid0(VALU_DEP_1) | instskip(NEXT) | instid1(VALU_DEP_1)
	v_and_b32_e32 v20, 15, v20
	v_cmp_eq_u16_e32 vcc_lo, 0, v20
	v_and_b32_e32 v25, 0xffff, v20
	v_and_b32_e32 v2, 7, v4
	v_lshrrev_b16 v4, 7, v4
	s_delay_alu instid0(VALU_DEP_2) | instskip(NEXT) | instid1(VALU_DEP_2)
	v_clz_i32_u32_e32 v19, v2
	v_and_b32_e32 v4, 1, v4
	s_delay_alu instid0(VALU_DEP_2) | instskip(NEXT) | instid1(VALU_DEP_2)
	v_min_u32_e32 v19, 32, v19
	v_lshlrev_b32_e32 v4, 15, v4
	s_delay_alu instid0(VALU_DEP_2) | instskip(SKIP_2) | instid1(VALU_DEP_1)
	v_subrev_nc_u32_e32 v21, 28, v19
	v_sub_nc_u32_e32 v19, 29, v19
	s_wait_alu 0xfffd
	v_cndmask_b32_e32 v19, v25, v19, vcc_lo
	s_delay_alu instid0(VALU_DEP_3) | instskip(NEXT) | instid1(VALU_DEP_2)
	v_lshlrev_b32_e32 v21, v21, v2
	v_lshl_add_u32 v19, v19, 10, 0x1c00
	s_delay_alu instid0(VALU_DEP_2) | instskip(NEXT) | instid1(VALU_DEP_1)
	v_and_b32_e32 v21, 7, v21
	v_cndmask_b32_e32 v2, v2, v21, vcc_lo
	s_delay_alu instid0(VALU_DEP_1) | instskip(NEXT) | instid1(VALU_DEP_1)
	v_lshlrev_b32_e32 v2, 7, v2
	v_or3_b32 v19, v4, v19, v2
.LBB4_60:
	s_wait_alu 0xfffe
	s_or_b32 exec_lo, exec_lo, s9
	v_and_b32_e32 v2, 0xff, v3
	s_mov_b32 s4, 0
	s_mov_b32 s9, exec_lo
	s_delay_alu instid0(VALU_DEP_1)
	v_cmpx_lt_i16_e32 0x7f, v2
	s_wait_alu 0xfffe
	s_xor_b32 s9, exec_lo, s9
	s_cbranch_execnz .LBB4_185
; %bb.61:
	s_wait_alu 0xfffe
	s_or_saveexec_b32 s9, s9
	v_mov_b32_e32 v20, 0x7c01
	s_wait_alu 0xfffe
	s_xor_b32 exec_lo, exec_lo, s9
	s_cbranch_execnz .LBB4_188
.LBB4_62:
	s_or_b32 exec_lo, exec_lo, s9
	s_and_saveexec_b32 s9, s4
	s_cbranch_execz .LBB4_64
.LBB4_63:
	v_and_b32_e32 v2, 7, v3
	v_lshrrev_b16 v20, 3, v3
	s_delay_alu instid0(VALU_DEP_2) | instskip(NEXT) | instid1(VALU_DEP_2)
	v_clz_i32_u32_e32 v4, v2
	v_and_b32_e32 v20, 15, v20
	s_delay_alu instid0(VALU_DEP_2) | instskip(NEXT) | instid1(VALU_DEP_2)
	v_min_u32_e32 v4, 32, v4
	v_cmp_eq_u16_e32 vcc_lo, 0, v20
	s_delay_alu instid0(VALU_DEP_2) | instskip(SKIP_1) | instid1(VALU_DEP_2)
	v_subrev_nc_u32_e32 v21, 28, v4
	v_sub_nc_u32_e32 v4, 29, v4
	v_lshlrev_b32_e32 v21, v21, v3
	v_lshlrev_b32_e32 v3, 8, v3
	s_delay_alu instid0(VALU_DEP_2) | instskip(SKIP_2) | instid1(VALU_DEP_2)
	v_and_b32_e32 v21, 7, v21
	v_and_b32_e32 v25, 0xffff, v20
	s_wait_alu 0xfffd
	v_dual_cndmask_b32 v2, v2, v21 :: v_dual_and_b32 v3, 0x8000, v3
	s_delay_alu instid0(VALU_DEP_2) | instskip(NEXT) | instid1(VALU_DEP_2)
	v_cndmask_b32_e32 v4, v25, v4, vcc_lo
	v_lshlrev_b32_e32 v2, 7, v2
	s_delay_alu instid0(VALU_DEP_2) | instskip(NEXT) | instid1(VALU_DEP_1)
	v_lshl_add_u32 v4, v4, 10, 0x1c00
	v_or3_b32 v20, v3, v4, v2
.LBB4_64:
	s_wait_alu 0xfffe
	s_or_b32 exec_lo, exec_lo, s9
	v_and_b32_e32 v2, 0xff, v22
	s_mov_b32 s4, 0
	s_mov_b32 s9, exec_lo
	s_delay_alu instid0(VALU_DEP_1)
	v_cmpx_lt_i16_e32 0x7f, v2
	s_wait_alu 0xfffe
	s_xor_b32 s9, exec_lo, s9
	s_cbranch_execnz .LBB4_189
; %bb.65:
	s_wait_alu 0xfffe
	s_or_saveexec_b32 s9, s9
	v_mov_b32_e32 v21, 0x7c01
	s_wait_alu 0xfffe
	s_xor_b32 exec_lo, exec_lo, s9
	s_cbranch_execnz .LBB4_192
.LBB4_66:
	s_or_b32 exec_lo, exec_lo, s9
	s_and_saveexec_b32 s9, s4
	s_cbranch_execz .LBB4_68
.LBB4_67:
	v_lshrrev_b16 v4, 3, v22
	s_delay_alu instid0(VALU_DEP_1) | instskip(NEXT) | instid1(VALU_DEP_1)
	v_and_b32_e32 v4, 15, v4
	v_cmp_eq_u16_e32 vcc_lo, 0, v4
	v_and_b32_e32 v25, 0xffff, v4
	v_and_b32_e32 v2, 7, v22
	v_lshrrev_b16 v22, 7, v22
	s_delay_alu instid0(VALU_DEP_2) | instskip(NEXT) | instid1(VALU_DEP_2)
	v_clz_i32_u32_e32 v3, v2
	v_and_b32_e32 v4, 1, v22
	s_delay_alu instid0(VALU_DEP_2) | instskip(NEXT) | instid1(VALU_DEP_2)
	v_min_u32_e32 v3, 32, v3
	v_lshlrev_b32_e32 v4, 15, v4
	s_delay_alu instid0(VALU_DEP_2) | instskip(SKIP_2) | instid1(VALU_DEP_1)
	v_subrev_nc_u32_e32 v21, 28, v3
	v_sub_nc_u32_e32 v3, 29, v3
	s_wait_alu 0xfffd
	v_cndmask_b32_e32 v3, v25, v3, vcc_lo
	s_delay_alu instid0(VALU_DEP_3) | instskip(NEXT) | instid1(VALU_DEP_2)
	v_lshlrev_b32_e32 v21, v21, v2
	v_lshl_add_u32 v3, v3, 10, 0x1c00
	s_delay_alu instid0(VALU_DEP_2) | instskip(NEXT) | instid1(VALU_DEP_1)
	v_and_b32_e32 v21, 7, v21
	v_cndmask_b32_e32 v2, v2, v21, vcc_lo
	s_delay_alu instid0(VALU_DEP_1) | instskip(NEXT) | instid1(VALU_DEP_1)
	v_lshlrev_b32_e32 v2, 7, v2
	v_or3_b32 v21, v4, v3, v2
.LBB4_68:
	s_wait_alu 0xfffe
	s_or_b32 exec_lo, exec_lo, s9
	v_and_b32_e32 v2, 0xff, v23
	s_mov_b32 s4, 0
	s_mov_b32 s9, exec_lo
	s_delay_alu instid0(VALU_DEP_1)
	v_cmpx_lt_i16_e32 0x7f, v2
	s_wait_alu 0xfffe
	s_xor_b32 s9, exec_lo, s9
	s_cbranch_execnz .LBB4_193
; %bb.69:
	s_wait_alu 0xfffe
	s_or_saveexec_b32 s9, s9
	v_mov_b32_e32 v22, 0x7c01
	s_wait_alu 0xfffe
	s_xor_b32 exec_lo, exec_lo, s9
	s_cbranch_execnz .LBB4_196
.LBB4_70:
	s_or_b32 exec_lo, exec_lo, s9
	s_and_saveexec_b32 s9, s4
	s_cbranch_execz .LBB4_72
.LBB4_71:
	v_and_b32_e32 v2, 7, v23
	v_lshrrev_b16 v4, 3, v23
	v_lshrrev_b16 v23, 7, v23
	s_delay_alu instid0(VALU_DEP_3) | instskip(NEXT) | instid1(VALU_DEP_1)
	v_clz_i32_u32_e32 v3, v2
	v_min_u32_e32 v3, 32, v3
	s_delay_alu instid0(VALU_DEP_1) | instskip(SKIP_2) | instid1(VALU_DEP_3)
	v_subrev_nc_u32_e32 v22, 28, v3
	v_sub_nc_u32_e32 v3, 29, v3
	v_and_b32_e32 v4, 15, v4
	v_lshlrev_b32_e32 v22, v22, v2
	s_delay_alu instid0(VALU_DEP_2) | instskip(NEXT) | instid1(VALU_DEP_2)
	v_cmp_eq_u16_e32 vcc_lo, 0, v4
	v_and_b32_e32 v22, 7, v22
	v_and_b32_e32 v25, 0xffff, v4
	;; [unrolled: 1-line block ×3, first 2 shown]
	s_wait_alu 0xfffd
	s_delay_alu instid0(VALU_DEP_2) | instskip(NEXT) | instid1(VALU_DEP_2)
	v_dual_cndmask_b32 v2, v2, v22 :: v_dual_cndmask_b32 v3, v25, v3
	v_lshlrev_b32_e32 v4, 15, v4
	s_delay_alu instid0(VALU_DEP_2) | instskip(NEXT) | instid1(VALU_DEP_3)
	v_lshlrev_b32_e32 v2, 7, v2
	v_lshl_add_u32 v3, v3, 10, 0x1c00
	s_delay_alu instid0(VALU_DEP_1)
	v_or3_b32 v22, v4, v3, v2
.LBB4_72:
	s_wait_alu 0xfffe
	s_or_b32 exec_lo, exec_lo, s9
	s_mov_b32 s9, 0
	s_mov_b32 s4, exec_lo
	v_cmpx_lt_i16_e32 0x7f, v5
	s_xor_b32 s4, exec_lo, s4
	s_cbranch_execnz .LBB4_197
; %bb.73:
	s_or_saveexec_b32 s4, s4
	v_mov_b32_e32 v23, 0x7c01
	s_xor_b32 exec_lo, exec_lo, s4
	s_cbranch_execnz .LBB4_200
.LBB4_74:
	s_or_b32 exec_lo, exec_lo, s4
	s_wait_alu 0xfffe
	s_and_saveexec_b32 s4, s9
	s_cbranch_execz .LBB4_76
.LBB4_75:
	v_lshrrev_b16 v4, 3, v5
	s_delay_alu instid0(VALU_DEP_1) | instskip(NEXT) | instid1(VALU_DEP_1)
	v_and_b32_e32 v4, 15, v4
	v_cmp_eq_u16_e32 vcc_lo, 0, v4
	v_and_b32_e32 v25, 0xffff, v4
	v_and_b32_e32 v2, 7, v5
	v_lshrrev_b16 v4, 7, v5
	s_delay_alu instid0(VALU_DEP_2) | instskip(NEXT) | instid1(VALU_DEP_2)
	v_clz_i32_u32_e32 v3, v2
	v_lshlrev_b32_e32 v4, 15, v4
	s_delay_alu instid0(VALU_DEP_2) | instskip(NEXT) | instid1(VALU_DEP_1)
	v_min_u32_e32 v3, 32, v3
	v_subrev_nc_u32_e32 v23, 28, v3
	v_sub_nc_u32_e32 v3, 29, v3
	s_wait_alu 0xfffd
	s_delay_alu instid0(VALU_DEP_1) | instskip(NEXT) | instid1(VALU_DEP_3)
	v_cndmask_b32_e32 v3, v25, v3, vcc_lo
	v_lshlrev_b32_e32 v23, v23, v2
	s_delay_alu instid0(VALU_DEP_2) | instskip(NEXT) | instid1(VALU_DEP_2)
	v_lshl_add_u32 v3, v3, 10, 0x1c00
	v_and_b32_e32 v23, 7, v23
	s_delay_alu instid0(VALU_DEP_1) | instskip(NEXT) | instid1(VALU_DEP_1)
	v_cndmask_b32_e32 v2, v2, v23, vcc_lo
	v_lshlrev_b32_e32 v2, 7, v2
	s_delay_alu instid0(VALU_DEP_1)
	v_or3_b32 v23, v4, v3, v2
.LBB4_76:
	s_or_b32 exec_lo, exec_lo, s4
	v_add_nc_u32_e32 v32, s7, v24
	s_mov_b32 s12, s8
	s_mov_b32 s14, s19
	;; [unrolled: 1-line block ×3, first 2 shown]
	s_mov_b32 s9, exec_lo
	buffer_load_b64 v[2:3], v32, s[12:15], null offen
	s_wait_loadcnt 0x0
	v_and_b32_e32 v4, 0xff, v2
	s_delay_alu instid0(VALU_DEP_1)
	v_cmpx_lt_i16_e32 0x7f, v4
	s_xor_b32 s9, exec_lo, s9
	s_cbranch_execnz .LBB4_201
; %bb.77:
	s_wait_alu 0xfffe
	s_or_saveexec_b32 s9, s9
	v_mov_b32_e32 v24, 0x7c01
	s_wait_alu 0xfffe
	s_xor_b32 exec_lo, exec_lo, s9
	s_cbranch_execnz .LBB4_204
.LBB4_78:
	s_or_b32 exec_lo, exec_lo, s9
	s_and_saveexec_b32 s9, s4
	s_cbranch_execz .LBB4_80
.LBB4_79:
	v_lshrrev_b16 v24, 3, v2
	s_delay_alu instid0(VALU_DEP_1) | instskip(NEXT) | instid1(VALU_DEP_1)
	v_and_b32_e32 v24, 15, v24
	v_and_b32_e32 v26, 0xffff, v24
	v_cmp_eq_u16_e32 vcc_lo, 0, v24
	v_and_b32_e32 v4, 7, v2
	v_lshlrev_b32_e32 v24, 8, v2
	s_delay_alu instid0(VALU_DEP_2) | instskip(NEXT) | instid1(VALU_DEP_2)
	v_clz_i32_u32_e32 v5, v4
	v_and_b32_e32 v24, 0x8000, v24
	s_delay_alu instid0(VALU_DEP_2) | instskip(NEXT) | instid1(VALU_DEP_1)
	v_min_u32_e32 v5, 32, v5
	v_subrev_nc_u32_e32 v25, 28, v5
	v_sub_nc_u32_e32 v5, 29, v5
	s_delay_alu instid0(VALU_DEP_2) | instskip(SKIP_1) | instid1(VALU_DEP_2)
	v_lshlrev_b32_e32 v25, v25, v2
	s_wait_alu 0xfffd
	v_cndmask_b32_e32 v5, v26, v5, vcc_lo
	s_delay_alu instid0(VALU_DEP_2) | instskip(NEXT) | instid1(VALU_DEP_2)
	v_and_b32_e32 v25, 7, v25
	v_lshl_add_u32 v5, v5, 10, 0x1c00
	s_delay_alu instid0(VALU_DEP_2) | instskip(NEXT) | instid1(VALU_DEP_1)
	v_cndmask_b32_e32 v4, v4, v25, vcc_lo
	v_lshlrev_b32_e32 v4, 7, v4
	s_delay_alu instid0(VALU_DEP_1)
	v_or3_b32 v24, v24, v5, v4
.LBB4_80:
	s_wait_alu 0xfffe
	s_or_b32 exec_lo, exec_lo, s9
	v_lshrrev_b32_e32 v26, 8, v2
	s_mov_b32 s4, 0
	s_mov_b32 s9, exec_lo
	s_delay_alu instid0(VALU_DEP_1) | instskip(NEXT) | instid1(VALU_DEP_1)
	v_and_b32_e32 v4, 0xff, v26
	v_cmpx_lt_i16_e32 0x7f, v4
	s_wait_alu 0xfffe
	s_xor_b32 s9, exec_lo, s9
	s_cbranch_execz .LBB4_84
; %bb.81:
	s_mov_b32 s4, -1
	s_mov_b32 s12, exec_lo
	v_cmpx_eq_u16_e32 0x80, v4
; %bb.82:
	s_xor_b32 s4, exec_lo, -1
; %bb.83:
	s_or_b32 exec_lo, exec_lo, s12
	s_delay_alu instid0(SALU_CYCLE_1)
	s_and_b32 s4, s4, exec_lo
                                        ; implicit-def: $vgpr4
.LBB4_84:
	s_wait_alu 0xfffe
	s_or_saveexec_b32 s9, s9
	v_mov_b32_e32 v25, 0x7c01
	s_wait_alu 0xfffe
	s_xor_b32 exec_lo, exec_lo, s9
; %bb.85:
	v_cmp_ne_u16_e32 vcc_lo, 0, v4
	v_mov_b32_e32 v25, 0
	s_and_not1_b32 s4, s4, exec_lo
	s_and_b32 s12, vcc_lo, exec_lo
	s_delay_alu instid0(SALU_CYCLE_1)
	s_or_b32 s4, s4, s12
; %bb.86:
	s_or_b32 exec_lo, exec_lo, s9
	v_lshrrev_b64 v[4:5], 24, v[2:3]
	v_lshrrev_b32_e32 v5, 24, v3
	v_lshrrev_b32_e32 v31, 16, v3
	;; [unrolled: 1-line block ×4, first 2 shown]
	s_and_saveexec_b32 s9, s4
	s_cbranch_execz .LBB4_88
; %bb.87:
	v_and_b32_e32 v25, 7, v26
	v_lshrrev_b16 v28, 3, v26
	v_lshrrev_b16 v26, 7, v26
	s_delay_alu instid0(VALU_DEP_3) | instskip(NEXT) | instid1(VALU_DEP_1)
	v_clz_i32_u32_e32 v27, v25
	v_min_u32_e32 v27, 32, v27
	s_delay_alu instid0(VALU_DEP_1) | instskip(SKIP_1) | instid1(VALU_DEP_2)
	v_subrev_nc_u32_e32 v29, 28, v27
	v_sub_nc_u32_e32 v27, 29, v27
	v_lshlrev_b32_e32 v29, v29, v25
	s_delay_alu instid0(VALU_DEP_1) | instskip(SKIP_1) | instid1(VALU_DEP_1)
	v_and_b32_e32 v29, 7, v29
	v_and_b32_e32 v28, 15, v28
	v_cmp_eq_u16_e32 vcc_lo, 0, v28
	s_wait_alu 0xfffd
	s_delay_alu instid0(VALU_DEP_3) | instskip(SKIP_2) | instid1(VALU_DEP_3)
	v_cndmask_b32_e32 v25, v25, v29, vcc_lo
	v_and_b32_e32 v33, 0xffff, v28
	v_and_b32_e32 v26, 1, v26
	v_lshlrev_b32_e32 v25, 7, v25
	s_delay_alu instid0(VALU_DEP_2) | instskip(NEXT) | instid1(VALU_DEP_1)
	v_dual_cndmask_b32 v27, v33, v27 :: v_dual_lshlrev_b32 v26, 15, v26
	v_lshl_add_u32 v27, v27, 10, 0x1c00
	s_delay_alu instid0(VALU_DEP_1)
	v_or3_b32 v25, v26, v27, v25
.LBB4_88:
	s_wait_alu 0xfffe
	s_or_b32 exec_lo, exec_lo, s9
	v_and_b32_e32 v27, 0xff, v2
	s_mov_b32 s4, 0
	s_mov_b32 s9, exec_lo
	s_delay_alu instid0(VALU_DEP_1)
	v_cmpx_lt_i16_e32 0x7f, v27
	s_wait_alu 0xfffe
	s_xor_b32 s9, exec_lo, s9
	s_cbranch_execnz .LBB4_205
; %bb.89:
	s_wait_alu 0xfffe
	s_or_saveexec_b32 s9, s9
	v_mov_b32_e32 v26, 0x7c01
	s_wait_alu 0xfffe
	s_xor_b32 exec_lo, exec_lo, s9
	s_cbranch_execnz .LBB4_208
.LBB4_90:
	s_or_b32 exec_lo, exec_lo, s9
	s_and_saveexec_b32 s9, s4
	s_cbranch_execz .LBB4_92
.LBB4_91:
	v_lshrrev_b16 v28, 3, v2
	s_delay_alu instid0(VALU_DEP_1) | instskip(NEXT) | instid1(VALU_DEP_1)
	v_and_b32_e32 v28, 15, v28
	v_cmp_eq_u16_e32 vcc_lo, 0, v28
	v_and_b32_e32 v33, 0xffff, v28
	v_and_b32_e32 v26, 7, v2
	v_lshrrev_b16 v2, 7, v2
	s_delay_alu instid0(VALU_DEP_2) | instskip(NEXT) | instid1(VALU_DEP_2)
	v_clz_i32_u32_e32 v27, v26
	v_and_b32_e32 v2, 1, v2
	s_delay_alu instid0(VALU_DEP_2) | instskip(NEXT) | instid1(VALU_DEP_2)
	v_min_u32_e32 v27, 32, v27
	v_lshlrev_b32_e32 v2, 15, v2
	s_delay_alu instid0(VALU_DEP_2) | instskip(SKIP_2) | instid1(VALU_DEP_1)
	v_subrev_nc_u32_e32 v29, 28, v27
	v_sub_nc_u32_e32 v27, 29, v27
	s_wait_alu 0xfffd
	v_cndmask_b32_e32 v27, v33, v27, vcc_lo
	s_delay_alu instid0(VALU_DEP_3) | instskip(NEXT) | instid1(VALU_DEP_2)
	v_lshlrev_b32_e32 v29, v29, v26
	v_lshl_add_u32 v27, v27, 10, 0x1c00
	s_delay_alu instid0(VALU_DEP_2) | instskip(NEXT) | instid1(VALU_DEP_1)
	v_and_b32_e32 v29, 7, v29
	v_cndmask_b32_e32 v26, v26, v29, vcc_lo
	s_delay_alu instid0(VALU_DEP_1) | instskip(NEXT) | instid1(VALU_DEP_1)
	v_lshlrev_b32_e32 v26, 7, v26
	v_or3_b32 v26, v2, v27, v26
.LBB4_92:
	s_wait_alu 0xfffe
	s_or_b32 exec_lo, exec_lo, s9
	v_and_b32_e32 v2, 0xff, v4
	s_mov_b32 s4, 0
	s_mov_b32 s9, exec_lo
	s_delay_alu instid0(VALU_DEP_1)
	v_cmpx_lt_i16_e32 0x7f, v2
	s_wait_alu 0xfffe
	s_xor_b32 s9, exec_lo, s9
	s_cbranch_execnz .LBB4_209
; %bb.93:
	s_wait_alu 0xfffe
	s_or_saveexec_b32 s9, s9
	v_mov_b32_e32 v27, 0x7c01
	s_wait_alu 0xfffe
	s_xor_b32 exec_lo, exec_lo, s9
	s_cbranch_execnz .LBB4_212
.LBB4_94:
	s_or_b32 exec_lo, exec_lo, s9
	s_and_saveexec_b32 s9, s4
	s_cbranch_execz .LBB4_96
.LBB4_95:
	v_lshrrev_b16 v28, 3, v4
	s_delay_alu instid0(VALU_DEP_1) | instskip(NEXT) | instid1(VALU_DEP_1)
	v_and_b32_e32 v28, 15, v28
	v_cmp_eq_u16_e32 vcc_lo, 0, v28
	v_and_b32_e32 v33, 0xffff, v28
	v_and_b32_e32 v2, 7, v4
	v_lshrrev_b16 v4, 7, v4
	s_delay_alu instid0(VALU_DEP_2) | instskip(NEXT) | instid1(VALU_DEP_2)
	v_clz_i32_u32_e32 v27, v2
	v_and_b32_e32 v4, 1, v4
	s_delay_alu instid0(VALU_DEP_2) | instskip(NEXT) | instid1(VALU_DEP_2)
	v_min_u32_e32 v27, 32, v27
	v_lshlrev_b32_e32 v4, 15, v4
	s_delay_alu instid0(VALU_DEP_2) | instskip(SKIP_2) | instid1(VALU_DEP_1)
	v_subrev_nc_u32_e32 v29, 28, v27
	v_sub_nc_u32_e32 v27, 29, v27
	s_wait_alu 0xfffd
	v_cndmask_b32_e32 v27, v33, v27, vcc_lo
	s_delay_alu instid0(VALU_DEP_3) | instskip(NEXT) | instid1(VALU_DEP_2)
	v_lshlrev_b32_e32 v29, v29, v2
	v_lshl_add_u32 v27, v27, 10, 0x1c00
	s_delay_alu instid0(VALU_DEP_2) | instskip(NEXT) | instid1(VALU_DEP_1)
	v_and_b32_e32 v29, 7, v29
	v_cndmask_b32_e32 v2, v2, v29, vcc_lo
	s_delay_alu instid0(VALU_DEP_1) | instskip(NEXT) | instid1(VALU_DEP_1)
	v_lshlrev_b32_e32 v2, 7, v2
	v_or3_b32 v27, v4, v27, v2
.LBB4_96:
	s_wait_alu 0xfffe
	s_or_b32 exec_lo, exec_lo, s9
	v_and_b32_e32 v2, 0xff, v3
	s_mov_b32 s4, 0
	s_mov_b32 s9, exec_lo
	s_delay_alu instid0(VALU_DEP_1)
	v_cmpx_lt_i16_e32 0x7f, v2
	s_wait_alu 0xfffe
	s_xor_b32 s9, exec_lo, s9
	s_cbranch_execnz .LBB4_213
; %bb.97:
	s_wait_alu 0xfffe
	s_or_saveexec_b32 s9, s9
	v_mov_b32_e32 v28, 0x7c01
	s_wait_alu 0xfffe
	s_xor_b32 exec_lo, exec_lo, s9
	s_cbranch_execnz .LBB4_216
.LBB4_98:
	s_or_b32 exec_lo, exec_lo, s9
	s_and_saveexec_b32 s9, s4
	s_cbranch_execz .LBB4_100
.LBB4_99:
	v_and_b32_e32 v2, 7, v3
	v_lshrrev_b16 v28, 3, v3
	s_delay_alu instid0(VALU_DEP_2) | instskip(NEXT) | instid1(VALU_DEP_2)
	v_clz_i32_u32_e32 v4, v2
	v_and_b32_e32 v28, 15, v28
	s_delay_alu instid0(VALU_DEP_2) | instskip(NEXT) | instid1(VALU_DEP_2)
	v_min_u32_e32 v4, 32, v4
	v_cmp_eq_u16_e32 vcc_lo, 0, v28
	s_delay_alu instid0(VALU_DEP_2) | instskip(SKIP_1) | instid1(VALU_DEP_2)
	v_subrev_nc_u32_e32 v29, 28, v4
	v_sub_nc_u32_e32 v4, 29, v4
	v_lshlrev_b32_e32 v29, v29, v3
	v_lshlrev_b32_e32 v3, 8, v3
	s_delay_alu instid0(VALU_DEP_2) | instskip(SKIP_2) | instid1(VALU_DEP_2)
	v_and_b32_e32 v29, 7, v29
	v_and_b32_e32 v33, 0xffff, v28
	s_wait_alu 0xfffd
	v_dual_cndmask_b32 v2, v2, v29 :: v_dual_and_b32 v3, 0x8000, v3
	s_delay_alu instid0(VALU_DEP_2) | instskip(NEXT) | instid1(VALU_DEP_2)
	v_cndmask_b32_e32 v4, v33, v4, vcc_lo
	v_lshlrev_b32_e32 v2, 7, v2
	s_delay_alu instid0(VALU_DEP_2) | instskip(NEXT) | instid1(VALU_DEP_1)
	v_lshl_add_u32 v4, v4, 10, 0x1c00
	v_or3_b32 v28, v3, v4, v2
.LBB4_100:
	s_wait_alu 0xfffe
	s_or_b32 exec_lo, exec_lo, s9
	v_and_b32_e32 v2, 0xff, v30
	s_mov_b32 s4, 0
	s_mov_b32 s9, exec_lo
	s_delay_alu instid0(VALU_DEP_1)
	v_cmpx_lt_i16_e32 0x7f, v2
	s_wait_alu 0xfffe
	s_xor_b32 s9, exec_lo, s9
	s_cbranch_execnz .LBB4_217
; %bb.101:
	s_wait_alu 0xfffe
	s_or_saveexec_b32 s9, s9
	v_mov_b32_e32 v29, 0x7c01
	s_wait_alu 0xfffe
	s_xor_b32 exec_lo, exec_lo, s9
	s_cbranch_execnz .LBB4_220
.LBB4_102:
	s_or_b32 exec_lo, exec_lo, s9
	s_and_saveexec_b32 s9, s4
	s_cbranch_execz .LBB4_104
.LBB4_103:
	v_lshrrev_b16 v4, 3, v30
	s_delay_alu instid0(VALU_DEP_1) | instskip(NEXT) | instid1(VALU_DEP_1)
	v_and_b32_e32 v4, 15, v4
	v_cmp_eq_u16_e32 vcc_lo, 0, v4
	v_and_b32_e32 v33, 0xffff, v4
	v_and_b32_e32 v2, 7, v30
	v_lshrrev_b16 v30, 7, v30
	s_delay_alu instid0(VALU_DEP_2) | instskip(NEXT) | instid1(VALU_DEP_2)
	v_clz_i32_u32_e32 v3, v2
	v_and_b32_e32 v4, 1, v30
	s_delay_alu instid0(VALU_DEP_2) | instskip(NEXT) | instid1(VALU_DEP_2)
	v_min_u32_e32 v3, 32, v3
	v_lshlrev_b32_e32 v4, 15, v4
	s_delay_alu instid0(VALU_DEP_2) | instskip(SKIP_2) | instid1(VALU_DEP_1)
	v_subrev_nc_u32_e32 v29, 28, v3
	v_sub_nc_u32_e32 v3, 29, v3
	s_wait_alu 0xfffd
	v_cndmask_b32_e32 v3, v33, v3, vcc_lo
	s_delay_alu instid0(VALU_DEP_3) | instskip(NEXT) | instid1(VALU_DEP_2)
	v_lshlrev_b32_e32 v29, v29, v2
	v_lshl_add_u32 v3, v3, 10, 0x1c00
	s_delay_alu instid0(VALU_DEP_2) | instskip(NEXT) | instid1(VALU_DEP_1)
	v_and_b32_e32 v29, 7, v29
	v_cndmask_b32_e32 v2, v2, v29, vcc_lo
	s_delay_alu instid0(VALU_DEP_1) | instskip(NEXT) | instid1(VALU_DEP_1)
	v_lshlrev_b32_e32 v2, 7, v2
	v_or3_b32 v29, v4, v3, v2
.LBB4_104:
	s_wait_alu 0xfffe
	s_or_b32 exec_lo, exec_lo, s9
	v_and_b32_e32 v2, 0xff, v31
	s_mov_b32 s4, 0
	s_mov_b32 s9, exec_lo
	s_delay_alu instid0(VALU_DEP_1)
	v_cmpx_lt_i16_e32 0x7f, v2
	s_wait_alu 0xfffe
	s_xor_b32 s9, exec_lo, s9
	s_cbranch_execnz .LBB4_221
; %bb.105:
	s_wait_alu 0xfffe
	s_or_saveexec_b32 s9, s9
	v_mov_b32_e32 v30, 0x7c01
	s_wait_alu 0xfffe
	s_xor_b32 exec_lo, exec_lo, s9
	s_cbranch_execnz .LBB4_224
.LBB4_106:
	s_or_b32 exec_lo, exec_lo, s9
	s_and_saveexec_b32 s9, s4
	s_cbranch_execz .LBB4_108
.LBB4_107:
	v_and_b32_e32 v2, 7, v31
	v_lshrrev_b16 v4, 3, v31
	v_lshrrev_b16 v31, 7, v31
	s_delay_alu instid0(VALU_DEP_3) | instskip(NEXT) | instid1(VALU_DEP_1)
	v_clz_i32_u32_e32 v3, v2
	v_min_u32_e32 v3, 32, v3
	s_delay_alu instid0(VALU_DEP_1) | instskip(SKIP_2) | instid1(VALU_DEP_3)
	v_subrev_nc_u32_e32 v30, 28, v3
	v_sub_nc_u32_e32 v3, 29, v3
	v_and_b32_e32 v4, 15, v4
	v_lshlrev_b32_e32 v30, v30, v2
	s_delay_alu instid0(VALU_DEP_2) | instskip(NEXT) | instid1(VALU_DEP_2)
	v_cmp_eq_u16_e32 vcc_lo, 0, v4
	v_and_b32_e32 v30, 7, v30
	v_and_b32_e32 v33, 0xffff, v4
	;; [unrolled: 1-line block ×3, first 2 shown]
	s_wait_alu 0xfffd
	s_delay_alu instid0(VALU_DEP_2) | instskip(NEXT) | instid1(VALU_DEP_2)
	v_dual_cndmask_b32 v2, v2, v30 :: v_dual_cndmask_b32 v3, v33, v3
	v_lshlrev_b32_e32 v4, 15, v4
	s_delay_alu instid0(VALU_DEP_2) | instskip(NEXT) | instid1(VALU_DEP_3)
	v_lshlrev_b32_e32 v2, 7, v2
	v_lshl_add_u32 v3, v3, 10, 0x1c00
	s_delay_alu instid0(VALU_DEP_1)
	v_or3_b32 v30, v4, v3, v2
.LBB4_108:
	s_wait_alu 0xfffe
	s_or_b32 exec_lo, exec_lo, s9
	s_mov_b32 s9, 0
	s_mov_b32 s4, exec_lo
	v_cmpx_lt_i16_e32 0x7f, v5
	s_xor_b32 s4, exec_lo, s4
	s_cbranch_execnz .LBB4_225
; %bb.109:
	s_or_saveexec_b32 s4, s4
	v_mov_b32_e32 v31, 0x7c01
	s_xor_b32 exec_lo, exec_lo, s4
	s_cbranch_execnz .LBB4_228
.LBB4_110:
	s_or_b32 exec_lo, exec_lo, s4
	s_wait_alu 0xfffe
	s_and_saveexec_b32 s4, s9
	s_cbranch_execz .LBB4_112
.LBB4_111:
	v_lshrrev_b16 v4, 3, v5
	s_delay_alu instid0(VALU_DEP_1) | instskip(NEXT) | instid1(VALU_DEP_1)
	v_and_b32_e32 v4, 15, v4
	v_cmp_eq_u16_e32 vcc_lo, 0, v4
	v_and_b32_e32 v33, 0xffff, v4
	v_and_b32_e32 v2, 7, v5
	v_lshrrev_b16 v4, 7, v5
	s_delay_alu instid0(VALU_DEP_2) | instskip(NEXT) | instid1(VALU_DEP_2)
	v_clz_i32_u32_e32 v3, v2
	v_lshlrev_b32_e32 v4, 15, v4
	s_delay_alu instid0(VALU_DEP_2) | instskip(NEXT) | instid1(VALU_DEP_1)
	v_min_u32_e32 v3, 32, v3
	v_subrev_nc_u32_e32 v31, 28, v3
	v_sub_nc_u32_e32 v3, 29, v3
	s_wait_alu 0xfffd
	s_delay_alu instid0(VALU_DEP_1) | instskip(NEXT) | instid1(VALU_DEP_3)
	v_cndmask_b32_e32 v3, v33, v3, vcc_lo
	v_lshlrev_b32_e32 v31, v31, v2
	s_delay_alu instid0(VALU_DEP_2) | instskip(NEXT) | instid1(VALU_DEP_2)
	v_lshl_add_u32 v3, v3, 10, 0x1c00
	v_and_b32_e32 v31, 7, v31
	s_delay_alu instid0(VALU_DEP_1) | instskip(NEXT) | instid1(VALU_DEP_1)
	v_cndmask_b32_e32 v2, v2, v31, vcc_lo
	v_lshlrev_b32_e32 v2, 7, v2
	s_delay_alu instid0(VALU_DEP_1)
	v_or3_b32 v31, v4, v3, v2
.LBB4_112:
	s_or_b32 exec_lo, exec_lo, s4
	v_add_nc_u32_e32 v2, s7, v32
	s_mov_b32 s12, s8
	s_mov_b32 s14, s19
	;; [unrolled: 1-line block ×3, first 2 shown]
	s_mov_b32 s7, exec_lo
	buffer_load_b64 v[2:3], v2, s[12:15], null offen
	s_wait_loadcnt 0x0
	v_and_b32_e32 v4, 0xff, v2
	s_delay_alu instid0(VALU_DEP_1)
	v_cmpx_lt_i16_e32 0x7f, v4
	s_xor_b32 s7, exec_lo, s7
	s_cbranch_execnz .LBB4_229
; %bb.113:
	s_wait_alu 0xfffe
	s_or_saveexec_b32 s7, s7
	v_mov_b32_e32 v32, 0x7c01
	s_wait_alu 0xfffe
	s_xor_b32 exec_lo, exec_lo, s7
	s_cbranch_execnz .LBB4_232
.LBB4_114:
	s_or_b32 exec_lo, exec_lo, s7
	s_and_saveexec_b32 s7, s4
	s_cbranch_execz .LBB4_116
.LBB4_115:
	v_lshrrev_b16 v32, 3, v2
	s_delay_alu instid0(VALU_DEP_1) | instskip(NEXT) | instid1(VALU_DEP_1)
	v_and_b32_e32 v32, 15, v32
	v_and_b32_e32 v34, 0xffff, v32
	v_cmp_eq_u16_e32 vcc_lo, 0, v32
	v_and_b32_e32 v4, 7, v2
	v_lshlrev_b32_e32 v32, 8, v2
	s_delay_alu instid0(VALU_DEP_2) | instskip(NEXT) | instid1(VALU_DEP_2)
	v_clz_i32_u32_e32 v5, v4
	v_and_b32_e32 v32, 0x8000, v32
	s_delay_alu instid0(VALU_DEP_2) | instskip(NEXT) | instid1(VALU_DEP_1)
	v_min_u32_e32 v5, 32, v5
	v_subrev_nc_u32_e32 v33, 28, v5
	v_sub_nc_u32_e32 v5, 29, v5
	s_delay_alu instid0(VALU_DEP_2) | instskip(SKIP_1) | instid1(VALU_DEP_2)
	v_lshlrev_b32_e32 v33, v33, v2
	s_wait_alu 0xfffd
	v_cndmask_b32_e32 v5, v34, v5, vcc_lo
	s_delay_alu instid0(VALU_DEP_2) | instskip(NEXT) | instid1(VALU_DEP_2)
	v_and_b32_e32 v33, 7, v33
	v_lshl_add_u32 v5, v5, 10, 0x1c00
	s_delay_alu instid0(VALU_DEP_2) | instskip(NEXT) | instid1(VALU_DEP_1)
	v_cndmask_b32_e32 v4, v4, v33, vcc_lo
	v_lshlrev_b32_e32 v4, 7, v4
	s_delay_alu instid0(VALU_DEP_1)
	v_or3_b32 v32, v32, v5, v4
.LBB4_116:
	s_wait_alu 0xfffe
	s_or_b32 exec_lo, exec_lo, s7
	v_lshrrev_b32_e32 v37, 8, v2
	s_mov_b32 s4, 0
	s_mov_b32 s7, exec_lo
	s_delay_alu instid0(VALU_DEP_1) | instskip(NEXT) | instid1(VALU_DEP_1)
	v_and_b32_e32 v4, 0xff, v37
	v_cmpx_lt_i16_e32 0x7f, v4
	s_wait_alu 0xfffe
	s_xor_b32 s7, exec_lo, s7
	s_cbranch_execz .LBB4_120
; %bb.117:
	s_mov_b32 s4, -1
	s_mov_b32 s8, exec_lo
	v_cmpx_eq_u16_e32 0x80, v4
; %bb.118:
	s_xor_b32 s4, exec_lo, -1
; %bb.119:
	s_wait_alu 0xfffe
	s_or_b32 exec_lo, exec_lo, s8
	s_delay_alu instid0(SALU_CYCLE_1)
	s_and_b32 s4, s4, exec_lo
                                        ; implicit-def: $vgpr4
.LBB4_120:
	s_wait_alu 0xfffe
	s_or_saveexec_b32 s7, s7
	v_mov_b32_e32 v33, 0x7c01
	s_wait_alu 0xfffe
	s_xor_b32 exec_lo, exec_lo, s7
; %bb.121:
	v_cmp_ne_u16_e32 vcc_lo, 0, v4
	v_mov_b32_e32 v33, 0
	s_and_not1_b32 s4, s4, exec_lo
	s_and_b32 s8, vcc_lo, exec_lo
	s_wait_alu 0xfffe
	s_or_b32 s4, s4, s8
; %bb.122:
	s_or_b32 exec_lo, exec_lo, s7
	v_lshrrev_b64 v[4:5], 24, v[2:3]
	v_lshrrev_b32_e32 v5, 24, v3
	v_lshrrev_b32_e32 v34, 16, v3
	;; [unrolled: 1-line block ×4, first 2 shown]
	s_and_saveexec_b32 s7, s4
	s_cbranch_execz .LBB4_124
; %bb.123:
	v_and_b32_e32 v2, 7, v37
	v_lshrrev_b16 v38, 3, v37
	v_lshrrev_b16 v37, 7, v37
	s_delay_alu instid0(VALU_DEP_3) | instskip(NEXT) | instid1(VALU_DEP_1)
	v_clz_i32_u32_e32 v33, v2
	v_min_u32_e32 v33, 32, v33
	s_delay_alu instid0(VALU_DEP_1) | instskip(SKIP_2) | instid1(VALU_DEP_3)
	v_subrev_nc_u32_e32 v39, 28, v33
	v_sub_nc_u32_e32 v33, 29, v33
	v_and_b32_e32 v38, 15, v38
	v_lshlrev_b32_e32 v39, v39, v2
	s_delay_alu instid0(VALU_DEP_2) | instskip(SKIP_1) | instid1(VALU_DEP_3)
	v_and_b32_e32 v40, 0xffff, v38
	v_cmp_eq_u16_e32 vcc_lo, 0, v38
	v_and_b32_e32 v39, 7, v39
	v_and_b32_e32 v37, 1, v37
	s_wait_alu 0xfffd
	s_delay_alu instid0(VALU_DEP_2) | instskip(NEXT) | instid1(VALU_DEP_2)
	v_dual_cndmask_b32 v33, v40, v33 :: v_dual_cndmask_b32 v2, v2, v39
	v_lshlrev_b32_e32 v37, 15, v37
	s_delay_alu instid0(VALU_DEP_2) | instskip(NEXT) | instid1(VALU_DEP_3)
	v_lshl_add_u32 v33, v33, 10, 0x1c00
	v_lshlrev_b32_e32 v2, 7, v2
	s_delay_alu instid0(VALU_DEP_1)
	v_or3_b32 v33, v37, v33, v2
.LBB4_124:
	s_wait_alu 0xfffe
	s_or_b32 exec_lo, exec_lo, s7
	v_and_b32_e32 v37, 0xff, v35
	s_mov_b32 s4, 0
	s_mov_b32 s7, exec_lo
	s_delay_alu instid0(VALU_DEP_1)
	v_cmpx_lt_i16_e32 0x7f, v37
	s_wait_alu 0xfffe
	s_xor_b32 s7, exec_lo, s7
	s_cbranch_execnz .LBB4_233
; %bb.125:
	s_wait_alu 0xfffe
	s_or_saveexec_b32 s7, s7
	v_mov_b32_e32 v2, 0x7c01
	s_wait_alu 0xfffe
	s_xor_b32 exec_lo, exec_lo, s7
	s_cbranch_execnz .LBB4_236
.LBB4_126:
	s_or_b32 exec_lo, exec_lo, s7
	s_and_saveexec_b32 s7, s4
	s_cbranch_execz .LBB4_128
.LBB4_127:
	v_lshrrev_b16 v38, 3, v35
	s_delay_alu instid0(VALU_DEP_1) | instskip(NEXT) | instid1(VALU_DEP_1)
	v_and_b32_e32 v38, 15, v38
	v_and_b32_e32 v40, 0xffff, v38
	v_cmp_eq_u16_e32 vcc_lo, 0, v38
	v_and_b32_e32 v2, 7, v35
	v_lshrrev_b16 v35, 7, v35
	s_delay_alu instid0(VALU_DEP_2) | instskip(NEXT) | instid1(VALU_DEP_2)
	v_clz_i32_u32_e32 v37, v2
	v_and_b32_e32 v35, 1, v35
	s_delay_alu instid0(VALU_DEP_2) | instskip(NEXT) | instid1(VALU_DEP_2)
	v_min_u32_e32 v37, 32, v37
	v_lshlrev_b32_e32 v35, 15, v35
	s_delay_alu instid0(VALU_DEP_2) | instskip(SKIP_2) | instid1(VALU_DEP_1)
	v_subrev_nc_u32_e32 v39, 28, v37
	v_sub_nc_u32_e32 v37, 29, v37
	s_wait_alu 0xfffd
	v_cndmask_b32_e32 v37, v40, v37, vcc_lo
	s_delay_alu instid0(VALU_DEP_3) | instskip(NEXT) | instid1(VALU_DEP_2)
	v_lshlrev_b32_e32 v39, v39, v2
	v_lshl_add_u32 v37, v37, 10, 0x1c00
	s_delay_alu instid0(VALU_DEP_2) | instskip(NEXT) | instid1(VALU_DEP_1)
	v_and_b32_e32 v39, 7, v39
	v_cndmask_b32_e32 v2, v2, v39, vcc_lo
	s_delay_alu instid0(VALU_DEP_1) | instskip(NEXT) | instid1(VALU_DEP_1)
	v_lshlrev_b32_e32 v2, 7, v2
	v_or3_b32 v2, v35, v37, v2
.LBB4_128:
	s_wait_alu 0xfffe
	s_or_b32 exec_lo, exec_lo, s7
	v_and_b32_e32 v37, 0xff, v4
	s_mov_b32 s4, 0
	s_mov_b32 s7, exec_lo
	s_delay_alu instid0(VALU_DEP_1)
	v_cmpx_lt_i16_e32 0x7f, v37
	s_wait_alu 0xfffe
	s_xor_b32 s7, exec_lo, s7
	s_cbranch_execnz .LBB4_237
; %bb.129:
	s_wait_alu 0xfffe
	s_or_saveexec_b32 s7, s7
	v_mov_b32_e32 v35, 0x7c01
	s_wait_alu 0xfffe
	s_xor_b32 exec_lo, exec_lo, s7
	s_cbranch_execnz .LBB4_240
.LBB4_130:
	s_or_b32 exec_lo, exec_lo, s7
	s_and_saveexec_b32 s7, s4
	s_cbranch_execz .LBB4_132
.LBB4_131:
	v_and_b32_e32 v35, 7, v4
	v_lshrrev_b16 v38, 3, v4
	v_lshrrev_b16 v4, 7, v4
	s_delay_alu instid0(VALU_DEP_3) | instskip(NEXT) | instid1(VALU_DEP_1)
	v_clz_i32_u32_e32 v37, v35
	v_min_u32_e32 v37, 32, v37
	s_delay_alu instid0(VALU_DEP_1) | instskip(SKIP_1) | instid1(VALU_DEP_2)
	v_subrev_nc_u32_e32 v39, 28, v37
	v_sub_nc_u32_e32 v37, 29, v37
	v_lshlrev_b32_e32 v39, v39, v35
	s_delay_alu instid0(VALU_DEP_1) | instskip(SKIP_1) | instid1(VALU_DEP_1)
	v_and_b32_e32 v39, 7, v39
	v_and_b32_e32 v38, 15, v38
	v_cmp_eq_u16_e32 vcc_lo, 0, v38
	s_wait_alu 0xfffd
	s_delay_alu instid0(VALU_DEP_3) | instskip(SKIP_1) | instid1(VALU_DEP_2)
	v_dual_cndmask_b32 v35, v35, v39 :: v_dual_and_b32 v40, 0xffff, v38
	v_and_b32_e32 v4, 1, v4
	v_lshlrev_b32_e32 v35, 7, v35
	s_delay_alu instid0(VALU_DEP_2) | instskip(NEXT) | instid1(VALU_DEP_1)
	v_dual_cndmask_b32 v37, v40, v37 :: v_dual_lshlrev_b32 v4, 15, v4
	v_lshl_add_u32 v37, v37, 10, 0x1c00
	s_delay_alu instid0(VALU_DEP_1)
	v_or3_b32 v35, v4, v37, v35
.LBB4_132:
	s_wait_alu 0xfffe
	s_or_b32 exec_lo, exec_lo, s7
	v_and_b32_e32 v37, 0xff, v3
	s_mov_b32 s4, 0
	s_mov_b32 s7, exec_lo
	s_delay_alu instid0(VALU_DEP_1)
	v_cmpx_lt_i16_e32 0x7f, v37
	s_wait_alu 0xfffe
	s_xor_b32 s7, exec_lo, s7
	s_cbranch_execnz .LBB4_241
; %bb.133:
	s_wait_alu 0xfffe
	s_or_saveexec_b32 s7, s7
	v_mov_b32_e32 v4, 0x7c01
	s_wait_alu 0xfffe
	s_xor_b32 exec_lo, exec_lo, s7
	s_cbranch_execnz .LBB4_244
.LBB4_134:
	s_or_b32 exec_lo, exec_lo, s7
	s_and_saveexec_b32 s7, s4
	s_cbranch_execz .LBB4_136
.LBB4_135:
	v_lshrrev_b16 v38, 3, v3
	s_delay_alu instid0(VALU_DEP_1) | instskip(NEXT) | instid1(VALU_DEP_1)
	v_and_b32_e32 v38, 15, v38
	v_and_b32_e32 v40, 0xffff, v38
	v_cmp_eq_u16_e32 vcc_lo, 0, v38
	v_and_b32_e32 v4, 7, v3
	s_delay_alu instid0(VALU_DEP_1) | instskip(NEXT) | instid1(VALU_DEP_1)
	v_clz_i32_u32_e32 v37, v4
	v_min_u32_e32 v37, 32, v37
	s_delay_alu instid0(VALU_DEP_1) | instskip(SKIP_1) | instid1(VALU_DEP_2)
	v_subrev_nc_u32_e32 v39, 28, v37
	v_sub_nc_u32_e32 v37, 29, v37
	v_lshlrev_b32_e32 v39, v39, v3
	v_lshlrev_b32_e32 v3, 8, v3
	s_wait_alu 0xfffd
	s_delay_alu instid0(VALU_DEP_3) | instskip(NEXT) | instid1(VALU_DEP_3)
	v_cndmask_b32_e32 v37, v40, v37, vcc_lo
	v_and_b32_e32 v39, 7, v39
	s_delay_alu instid0(VALU_DEP_3) | instskip(NEXT) | instid1(VALU_DEP_3)
	v_and_b32_e32 v3, 0x8000, v3
	v_lshl_add_u32 v37, v37, 10, 0x1c00
	s_delay_alu instid0(VALU_DEP_3) | instskip(NEXT) | instid1(VALU_DEP_1)
	v_cndmask_b32_e32 v4, v4, v39, vcc_lo
	v_lshlrev_b32_e32 v4, 7, v4
	s_delay_alu instid0(VALU_DEP_1)
	v_or3_b32 v4, v3, v37, v4
.LBB4_136:
	s_wait_alu 0xfffe
	s_or_b32 exec_lo, exec_lo, s7
	v_and_b32_e32 v37, 0xff, v36
	s_mov_b32 s4, 0
	s_mov_b32 s7, exec_lo
	s_delay_alu instid0(VALU_DEP_1)
	v_cmpx_lt_i16_e32 0x7f, v37
	s_wait_alu 0xfffe
	s_xor_b32 s7, exec_lo, s7
	s_cbranch_execnz .LBB4_245
; %bb.137:
	s_wait_alu 0xfffe
	s_or_saveexec_b32 s7, s7
	v_mov_b32_e32 v3, 0x7c01
	s_wait_alu 0xfffe
	s_xor_b32 exec_lo, exec_lo, s7
	s_cbranch_execnz .LBB4_248
.LBB4_138:
	s_or_b32 exec_lo, exec_lo, s7
	s_and_saveexec_b32 s7, s4
	s_cbranch_execz .LBB4_140
.LBB4_139:
	v_and_b32_e32 v3, 7, v36
	v_lshrrev_b16 v38, 3, v36
	v_lshrrev_b16 v36, 7, v36
	s_delay_alu instid0(VALU_DEP_3) | instskip(NEXT) | instid1(VALU_DEP_1)
	v_clz_i32_u32_e32 v37, v3
	v_min_u32_e32 v37, 32, v37
	s_delay_alu instid0(VALU_DEP_1) | instskip(SKIP_1) | instid1(VALU_DEP_2)
	v_subrev_nc_u32_e32 v39, 28, v37
	v_sub_nc_u32_e32 v37, 29, v37
	v_lshlrev_b32_e32 v39, v39, v3
	s_delay_alu instid0(VALU_DEP_1) | instskip(SKIP_1) | instid1(VALU_DEP_1)
	v_and_b32_e32 v39, 7, v39
	v_and_b32_e32 v38, 15, v38
	v_cmp_eq_u16_e32 vcc_lo, 0, v38
	s_wait_alu 0xfffd
	s_delay_alu instid0(VALU_DEP_3) | instskip(SKIP_1) | instid1(VALU_DEP_2)
	v_dual_cndmask_b32 v3, v3, v39 :: v_dual_and_b32 v40, 0xffff, v38
	v_and_b32_e32 v36, 1, v36
	v_lshlrev_b32_e32 v3, 7, v3
	s_delay_alu instid0(VALU_DEP_2) | instskip(NEXT) | instid1(VALU_DEP_1)
	v_dual_cndmask_b32 v37, v40, v37 :: v_dual_lshlrev_b32 v36, 15, v36
	v_lshl_add_u32 v37, v37, 10, 0x1c00
	s_delay_alu instid0(VALU_DEP_1)
	v_or3_b32 v3, v36, v37, v3
.LBB4_140:
	s_wait_alu 0xfffe
	s_or_b32 exec_lo, exec_lo, s7
	v_and_b32_e32 v37, 0xff, v34
	s_mov_b32 s4, 0
	s_mov_b32 s7, exec_lo
	s_delay_alu instid0(VALU_DEP_1)
	v_cmpx_lt_i16_e32 0x7f, v37
	s_wait_alu 0xfffe
	s_xor_b32 s7, exec_lo, s7
	s_cbranch_execnz .LBB4_249
; %bb.141:
	s_wait_alu 0xfffe
	s_or_saveexec_b32 s7, s7
	v_mov_b32_e32 v36, 0x7c01
	s_wait_alu 0xfffe
	s_xor_b32 exec_lo, exec_lo, s7
	s_cbranch_execnz .LBB4_252
.LBB4_142:
	s_or_b32 exec_lo, exec_lo, s7
	s_and_saveexec_b32 s7, s4
	s_cbranch_execz .LBB4_144
.LBB4_143:
	v_lshrrev_b16 v38, 3, v34
	s_delay_alu instid0(VALU_DEP_1) | instskip(NEXT) | instid1(VALU_DEP_1)
	v_and_b32_e32 v38, 15, v38
	v_and_b32_e32 v40, 0xffff, v38
	v_cmp_eq_u16_e32 vcc_lo, 0, v38
	v_and_b32_e32 v36, 7, v34
	v_lshrrev_b16 v34, 7, v34
	s_delay_alu instid0(VALU_DEP_2) | instskip(NEXT) | instid1(VALU_DEP_2)
	v_clz_i32_u32_e32 v37, v36
	v_and_b32_e32 v34, 1, v34
	s_delay_alu instid0(VALU_DEP_2) | instskip(NEXT) | instid1(VALU_DEP_2)
	v_min_u32_e32 v37, 32, v37
	v_lshlrev_b32_e32 v34, 15, v34
	s_delay_alu instid0(VALU_DEP_2) | instskip(SKIP_2) | instid1(VALU_DEP_1)
	v_subrev_nc_u32_e32 v39, 28, v37
	v_sub_nc_u32_e32 v37, 29, v37
	s_wait_alu 0xfffd
	v_cndmask_b32_e32 v37, v40, v37, vcc_lo
	s_delay_alu instid0(VALU_DEP_3) | instskip(NEXT) | instid1(VALU_DEP_2)
	v_lshlrev_b32_e32 v39, v39, v36
	v_lshl_add_u32 v37, v37, 10, 0x1c00
	s_delay_alu instid0(VALU_DEP_2) | instskip(NEXT) | instid1(VALU_DEP_1)
	v_and_b32_e32 v39, 7, v39
	v_cndmask_b32_e32 v36, v36, v39, vcc_lo
	s_delay_alu instid0(VALU_DEP_1) | instskip(NEXT) | instid1(VALU_DEP_1)
	v_lshlrev_b32_e32 v36, 7, v36
	v_or3_b32 v36, v34, v37, v36
.LBB4_144:
	s_wait_alu 0xfffe
	s_or_b32 exec_lo, exec_lo, s7
	s_mov_b32 s7, 0
	s_mov_b32 s4, exec_lo
	v_cmpx_lt_i16_e32 0x7f, v5
	s_xor_b32 s4, exec_lo, s4
	s_cbranch_execnz .LBB4_253
; %bb.145:
	s_or_saveexec_b32 s4, s4
	v_mov_b32_e32 v34, 0x7c01
	s_xor_b32 exec_lo, exec_lo, s4
	s_cbranch_execnz .LBB4_256
.LBB4_146:
	s_or_b32 exec_lo, exec_lo, s4
	s_wait_alu 0xfffe
	s_and_saveexec_b32 s4, s7
	s_cbranch_execz .LBB4_148
.LBB4_147:
	v_and_b32_e32 v34, 7, v5
	v_lshrrev_b16 v38, 3, v5
	v_lshrrev_b16 v5, 7, v5
	s_delay_alu instid0(VALU_DEP_3) | instskip(NEXT) | instid1(VALU_DEP_2)
	v_clz_i32_u32_e32 v37, v34
	v_lshlrev_b32_e32 v5, 15, v5
	s_delay_alu instid0(VALU_DEP_2) | instskip(NEXT) | instid1(VALU_DEP_1)
	v_min_u32_e32 v37, 32, v37
	v_subrev_nc_u32_e32 v39, 28, v37
	v_sub_nc_u32_e32 v37, 29, v37
	v_and_b32_e32 v38, 15, v38
	s_delay_alu instid0(VALU_DEP_3) | instskip(NEXT) | instid1(VALU_DEP_2)
	v_lshlrev_b32_e32 v39, v39, v34
	v_and_b32_e32 v40, 0xffff, v38
	v_cmp_eq_u16_e32 vcc_lo, 0, v38
	s_delay_alu instid0(VALU_DEP_3) | instskip(SKIP_1) | instid1(VALU_DEP_1)
	v_and_b32_e32 v39, 7, v39
	s_wait_alu 0xfffd
	v_dual_cndmask_b32 v37, v40, v37 :: v_dual_cndmask_b32 v34, v34, v39
	s_delay_alu instid0(VALU_DEP_1) | instskip(NEXT) | instid1(VALU_DEP_2)
	v_lshl_add_u32 v37, v37, 10, 0x1c00
	v_lshlrev_b32_e32 v34, 7, v34
	s_delay_alu instid0(VALU_DEP_1)
	v_or3_b32 v34, v5, v37, v34
.LBB4_148:
	s_or_b32 exec_lo, exec_lo, s4
	v_lshrrev_b32_e32 v45, 1, v0
	s_mov_b32 s13, 0
	s_mov_b32 s12, s17
	s_add_co_i32 s15, s5, 0x7fffffff
	s_mul_u64 s[2:3], s[2:3], s[12:13]
	v_and_b32_e32 v46, 0x7e, v45
	s_mov_b32 s14, s13
	s_mov_b32 s12, s16
	s_and_b32 s9, s11, 0xffff
	s_mul_u64 s[12:13], s[14:15], s[12:13]
	v_lshl_or_b32 v5, s20, 7, v46
	s_add_co_i32 s2, s6, s13
	s_mov_b32 s11, 0x31004000
	s_mov_b32 s8, s10
	s_lshl_b32 s10, s2, 1
	v_mad_co_u64_u32 v[37:38], null, v5, s16, v[1:2]
	v_and_b32_e32 v47, 15, v0
	v_perm_b32 v13, v13, v12, 0x5040100
	v_perm_b32 v12, v11, v6, 0x5040100
	v_lshlrev_b32_e32 v6, 4, v8
	v_lshrrev_b32_e32 v50, 3, v0
	v_mul_u32_u24_e32 v8, 0x810, v7
	v_lshlrev_b32_e32 v1, 1, v37
	v_add_lshl_u32 v5, v37, s16, 1
	v_mad_u32_u24 v6, 0x1010, v7, v6
	v_lshlrev_b32_e32 v7, 4, v47
	v_perm_b32 v11, v10, v9, 0x5040100
	s_clause 0x1
	buffer_load_b128 v[37:40], v1, s[8:11], null offen
	buffer_load_b128 v[41:44], v5, s[8:11], null offen
	v_and_b32_e32 v1, 0x80, v0
	v_lshlrev_b32_e32 v9, 3, v0
	v_perm_b32 v14, v15, v14, 0x5040100
	v_and_b32_e32 v10, 0x60, v0
	v_and_b32_e32 v0, 2, v50
	v_lshl_or_b32 v1, v1, 1, v7
	v_perm_b32 v22, v23, v22, 0x5040100
	v_perm_b32 v21, v21, v20, 0x5040100
	;; [unrolled: 1-line block ×4, first 2 shown]
	v_and_or_b32 v7, 0x300, v9, v7
	v_perm_b32 v18, v31, v30, 0x5040100
	v_perm_b32 v17, v29, v28, 0x5040100
	;; [unrolled: 1-line block ×4, first 2 shown]
	v_and_b32_e32 v23, 8, v45
	ds_store_b128 v6, v[11:14]
	ds_store_b128 v6, v[19:22] offset:16
	v_lshl_add_u32 v8, v46, 4, v8
	v_mad_u32_u24 v12, 0x1010, v0, v1
	v_perm_b32 v5, v34, v36, 0x5040100
	v_perm_b32 v4, v3, v4, 0x5040100
	;; [unrolled: 1-line block ×4, first 2 shown]
	v_and_b32_e32 v24, 56, v9
	v_mad_u32_u24 v9, 0x810, v0, v7
	ds_store_b128 v6, v[15:18] offset:32
	ds_store_b128 v6, v[2:5] offset:48
	v_and_or_b32 v4, v50, 16, v23
	v_lshlrev_b32_e32 v11, 1, v24
	v_lshl_or_b32 v95, s21, 8, v50
	v_lshl_or_b32 v94, s20, 7, v24
	s_add_co_i32 s2, s5, s3
	v_lshlrev_b32_e32 v13, 7, v4
	v_lshl_or_b32 v32, v50, 7, v11
	s_wait_kmcnt 0x0
	s_and_b32 s1, s1, 0xffff
	v_mad_co_u64_u32 v[94:95], null, v95, s17, v[94:95]
	s_mov_b32 s3, s11
	s_lshl_b32 s2, s2, 1
	s_lshl_b32 s4, s17, 5
	s_wait_loadcnt 0x1
	ds_store_b128 v8, v[37:40] offset:16432
	s_wait_loadcnt 0x0
	ds_store_b128 v8, v[41:44] offset:16448
	s_wait_dscnt 0x0
	s_barrier_signal -1
	s_barrier_wait -1
	ds_load_b128 v[42:45], v12
	ds_load_b128 v[0:3], v9 offset:16432
	v_lshlrev_b32_e32 v8, 1, v47
	ds_load_b128 v[46:49], v12 offset:4112
	ds_load_b128 v[4:7], v9 offset:18496
	;; [unrolled: 1-line block ×12, first 2 shown]
	v_or3_b32 v33, v10, v13, v8
	ds_load_b128 v[82:85], v12 offset:6160
	ds_load_b128 v[86:89], v12 offset:6672
	;; [unrolled: 1-line block ×6, first 2 shown]
	s_wait_dscnt 0x0
	s_barrier_signal -1
	s_barrier_wait -1
	v_wmma_f32_16x16x16_f16 v[34:41], v[42:45], v[0:3], 0
	s_delay_alu instid0(VALU_DEP_1) | instskip(NEXT) | instid1(VALU_DEP_1)
	v_wmma_f32_16x16x16_f16 v[34:41], v[46:49], v[4:7], v[34:41]
	v_cvt_f16_f32_e32 v34, v34
	s_delay_alu instid0(VALU_DEP_2) | instskip(NEXT) | instid1(VALU_DEP_3)
	v_cvt_f16_f32_e32 v35, v35
	v_cvt_f16_f32_e32 v36, v36
	s_delay_alu instid0(VALU_DEP_4)
	v_cvt_f16_f32_e32 v37, v37
	v_cvt_f16_f32_e32 v38, v38
	;; [unrolled: 1-line block ×5, first 2 shown]
	ds_store_b16 v33, v34
	ds_store_b16 v33, v35 offset:128
	ds_store_b16 v33, v36 offset:256
	;; [unrolled: 1-line block ×7, first 2 shown]
	s_wait_dscnt 0x0
	s_barrier_signal -1
	s_barrier_wait -1
	ds_load_b128 v[90:93], v32
	v_wmma_f32_16x16x16_f16 v[34:41], v[42:45], v[20:23], 0
	s_delay_alu instid0(VALU_DEP_1) | instskip(SKIP_2) | instid1(VALU_DEP_3)
	v_wmma_f32_16x16x16_f16 v[34:41], v[46:49], v[16:19], v[34:41]
	v_lshlrev_b32_e32 v46, 1, v94
	v_add_nc_u32_e32 v47, 64, v94
	v_cvt_f16_f32_e32 v34, v34
	s_delay_alu instid0(VALU_DEP_4)
	v_cvt_f16_f32_e32 v35, v35
	v_cvt_f16_f32_e32 v36, v36
	;; [unrolled: 1-line block ×7, first 2 shown]
	v_lshlrev_b32_e32 v48, 1, v47
	s_wait_dscnt 0x0
	buffer_store_b128 v[90:93], v46, s[0:3], null offen
	s_wait_dscnt 0x0
	s_barrier_signal -1
	s_barrier_wait -1
	ds_store_b16 v33, v34
	ds_store_b16 v33, v35 offset:128
	ds_store_b16 v33, v36 offset:256
	;; [unrolled: 1-line block ×7, first 2 shown]
	s_wait_dscnt 0x0
	s_barrier_signal -1
	s_barrier_wait -1
	ds_load_b128 v[42:45], v32
	v_wmma_f32_16x16x16_f16 v[34:41], v[50:53], v[20:23], 0
	s_wait_dscnt 0x0
	s_clause 0x1
	buffer_store_b64 v[42:43], v48, s[0:3], null offen
	buffer_store_b64 v[44:45], v46, s[0:3], null offen offset:136
	v_wmma_f32_16x16x16_f16 v[34:41], v[54:57], v[16:19], v[34:41]
	s_wait_dscnt 0x0
	s_barrier_signal -1
	s_barrier_wait -1
	v_add_lshl_u32 v46, v47, s4, 1
	v_cvt_f16_f32_e32 v34, v34
	v_cvt_f16_f32_e32 v35, v35
	;; [unrolled: 1-line block ×8, first 2 shown]
	ds_store_b16 v33, v34
	ds_store_b16 v33, v35 offset:128
	ds_store_b16 v33, v36 offset:256
	;; [unrolled: 1-line block ×7, first 2 shown]
	s_wait_dscnt 0x0
	s_barrier_signal -1
	s_barrier_wait -1
	ds_load_b128 v[42:45], v32
	v_wmma_f32_16x16x16_f16 v[34:41], v[50:53], v[0:3], 0
	s_delay_alu instid0(VALU_DEP_1) | instskip(NEXT) | instid1(VALU_DEP_1)
	v_wmma_f32_16x16x16_f16 v[34:41], v[54:57], v[4:7], v[34:41]
	v_cvt_f16_f32_e32 v34, v34
	s_delay_alu instid0(VALU_DEP_2) | instskip(NEXT) | instid1(VALU_DEP_3)
	v_cvt_f16_f32_e32 v35, v35
	v_cvt_f16_f32_e32 v36, v36
	s_delay_alu instid0(VALU_DEP_4)
	v_cvt_f16_f32_e32 v37, v37
	v_cvt_f16_f32_e32 v38, v38
	;; [unrolled: 1-line block ×5, first 2 shown]
	s_wait_dscnt 0x0
	buffer_store_b128 v[42:45], v46, s[0:3], null offen
	s_wait_dscnt 0x0
	s_barrier_signal -1
	s_barrier_wait -1
	ds_store_b16 v33, v34
	ds_store_b16 v33, v35 offset:128
	ds_store_b16 v33, v36 offset:256
	;; [unrolled: 1-line block ×7, first 2 shown]
	s_wait_dscnt 0x0
	s_barrier_signal -1
	s_barrier_wait -1
	ds_load_b128 v[42:45], v32
	v_wmma_f32_16x16x16_f16 v[34:41], v[58:61], v[0:3], 0
	v_add_nc_u32_e32 v46, s4, v94
	s_delay_alu instid0(VALU_DEP_2) | instskip(NEXT) | instid1(VALU_DEP_2)
	v_wmma_f32_16x16x16_f16 v[34:41], v[66:69], v[4:7], v[34:41]
	v_lshlrev_b32_e32 v47, 1, v46
	v_add_nc_u32_e32 v46, s4, v46
	s_delay_alu instid0(VALU_DEP_3) | instskip(NEXT) | instid1(VALU_DEP_4)
	v_cvt_f16_f32_e32 v34, v34
	v_cvt_f16_f32_e32 v35, v35
	v_cvt_f16_f32_e32 v36, v36
	v_cvt_f16_f32_e32 v37, v37
	v_cvt_f16_f32_e32 v38, v38
	v_cvt_f16_f32_e32 v39, v39
	v_cvt_f16_f32_e32 v40, v40
	v_cvt_f16_f32_e32 v41, v41
	v_add_nc_u32_e32 v48, 64, v46
	s_wait_dscnt 0x0
	buffer_store_b128 v[42:45], v47, s[0:3], null offen
	s_wait_dscnt 0x0
	s_barrier_signal -1
	s_barrier_wait -1
	ds_store_b16 v33, v34
	ds_store_b16 v33, v35 offset:128
	ds_store_b16 v33, v36 offset:256
	;; [unrolled: 1-line block ×7, first 2 shown]
	s_wait_dscnt 0x0
	s_barrier_signal -1
	s_barrier_wait -1
	ds_load_b128 v[42:45], v32
	v_wmma_f32_16x16x16_f16 v[34:41], v[58:61], v[20:23], 0
	v_lshlrev_b32_e32 v47, 1, v46
	v_lshlrev_b32_e32 v49, 1, v48
	v_add_nc_u32_e32 v46, s4, v46
	s_delay_alu instid0(VALU_DEP_4) | instskip(NEXT) | instid1(VALU_DEP_1)
	v_wmma_f32_16x16x16_f16 v[34:41], v[66:69], v[16:19], v[34:41]
	v_cvt_f16_f32_e32 v34, v34
	s_delay_alu instid0(VALU_DEP_2) | instskip(NEXT) | instid1(VALU_DEP_3)
	v_cvt_f16_f32_e32 v35, v35
	v_cvt_f16_f32_e32 v36, v36
	s_delay_alu instid0(VALU_DEP_4)
	v_cvt_f16_f32_e32 v37, v37
	v_cvt_f16_f32_e32 v38, v38
	;; [unrolled: 1-line block ×5, first 2 shown]
	s_wait_dscnt 0x0
	buffer_store_b128 v[42:45], v47, s[0:3], null offen
	s_wait_dscnt 0x0
	s_barrier_signal -1
	s_barrier_wait -1
	ds_store_b16 v33, v34
	ds_store_b16 v33, v35 offset:128
	ds_store_b16 v33, v36 offset:256
	;; [unrolled: 1-line block ×7, first 2 shown]
	s_wait_dscnt 0x0
	s_barrier_signal -1
	s_barrier_wait -1
	ds_load_b128 v[42:45], v32
	v_wmma_f32_16x16x16_f16 v[34:41], v[62:65], v[20:23], 0
	s_wait_dscnt 0x0
	s_clause 0x1
	buffer_store_b64 v[42:43], v49, s[0:3], null offen
	buffer_store_b64 v[44:45], v47, s[0:3], null offen offset:136
	v_wmma_f32_16x16x16_f16 v[34:41], v[70:73], v[16:19], v[34:41]
	s_wait_dscnt 0x0
	s_barrier_signal -1
	s_barrier_wait -1
	v_add_lshl_u32 v47, v48, s4, 1
	v_cvt_f16_f32_e32 v34, v34
	v_cvt_f16_f32_e32 v35, v35
	;; [unrolled: 1-line block ×8, first 2 shown]
	ds_store_b16 v33, v34
	ds_store_b16 v33, v35 offset:128
	ds_store_b16 v33, v36 offset:256
	;; [unrolled: 1-line block ×7, first 2 shown]
	s_wait_dscnt 0x0
	s_barrier_signal -1
	s_barrier_wait -1
	ds_load_b128 v[42:45], v32
	v_wmma_f32_16x16x16_f16 v[34:41], v[62:65], v[0:3], 0
	s_delay_alu instid0(VALU_DEP_1) | instskip(NEXT) | instid1(VALU_DEP_1)
	v_wmma_f32_16x16x16_f16 v[34:41], v[70:73], v[4:7], v[34:41]
	v_cvt_f16_f32_e32 v34, v34
	s_delay_alu instid0(VALU_DEP_2) | instskip(NEXT) | instid1(VALU_DEP_3)
	v_cvt_f16_f32_e32 v35, v35
	v_cvt_f16_f32_e32 v36, v36
	s_delay_alu instid0(VALU_DEP_4)
	v_cvt_f16_f32_e32 v37, v37
	v_cvt_f16_f32_e32 v38, v38
	;; [unrolled: 1-line block ×5, first 2 shown]
	s_wait_dscnt 0x0
	buffer_store_b128 v[42:45], v47, s[0:3], null offen
	s_wait_dscnt 0x0
	s_barrier_signal -1
	s_barrier_wait -1
	ds_store_b16 v33, v34
	ds_store_b16 v33, v35 offset:128
	ds_store_b16 v33, v36 offset:256
	;; [unrolled: 1-line block ×7, first 2 shown]
	s_wait_dscnt 0x0
	s_barrier_signal -1
	s_barrier_wait -1
	ds_load_b128 v[42:45], v32
	v_wmma_f32_16x16x16_f16 v[34:41], v[74:77], v[0:3], 0
	v_lshlrev_b32_e32 v47, 1, v46
	v_add_nc_u32_e32 v46, s4, v46
	s_delay_alu instid0(VALU_DEP_3) | instskip(NEXT) | instid1(VALU_DEP_2)
	v_wmma_f32_16x16x16_f16 v[34:41], v[82:85], v[4:7], v[34:41]
	v_add_nc_u32_e32 v48, 64, v46
	s_delay_alu instid0(VALU_DEP_2) | instskip(NEXT) | instid1(VALU_DEP_3)
	v_cvt_f16_f32_e32 v34, v34
	v_cvt_f16_f32_e32 v35, v35
	s_delay_alu instid0(VALU_DEP_4)
	v_cvt_f16_f32_e32 v36, v36
	v_cvt_f16_f32_e32 v37, v37
	v_cvt_f16_f32_e32 v38, v38
	v_cvt_f16_f32_e32 v39, v39
	v_cvt_f16_f32_e32 v40, v40
	v_cvt_f16_f32_e32 v41, v41
	v_lshlrev_b32_e32 v49, 1, v48
	s_wait_dscnt 0x0
	buffer_store_b128 v[42:45], v47, s[0:3], null offen
	s_wait_dscnt 0x0
	s_barrier_signal -1
	s_barrier_wait -1
	ds_store_b16 v33, v34
	ds_store_b16 v33, v35 offset:128
	ds_store_b16 v33, v36 offset:256
	;; [unrolled: 1-line block ×7, first 2 shown]
	s_wait_dscnt 0x0
	s_barrier_signal -1
	s_barrier_wait -1
	ds_load_b128 v[42:45], v32
	v_wmma_f32_16x16x16_f16 v[34:41], v[74:77], v[20:23], 0
	v_lshlrev_b32_e32 v47, 1, v46
	v_add_nc_u32_e32 v46, s4, v46
	s_delay_alu instid0(VALU_DEP_3) | instskip(NEXT) | instid1(VALU_DEP_1)
	v_wmma_f32_16x16x16_f16 v[34:41], v[82:85], v[16:19], v[34:41]
	v_cvt_f16_f32_e32 v34, v34
	s_delay_alu instid0(VALU_DEP_2) | instskip(NEXT) | instid1(VALU_DEP_3)
	v_cvt_f16_f32_e32 v35, v35
	v_cvt_f16_f32_e32 v36, v36
	s_delay_alu instid0(VALU_DEP_4)
	v_cvt_f16_f32_e32 v37, v37
	v_cvt_f16_f32_e32 v38, v38
	;; [unrolled: 1-line block ×5, first 2 shown]
	s_wait_dscnt 0x0
	buffer_store_b128 v[42:45], v47, s[0:3], null offen
	s_wait_dscnt 0x0
	s_barrier_signal -1
	s_barrier_wait -1
	ds_store_b16 v33, v34
	ds_store_b16 v33, v35 offset:128
	ds_store_b16 v33, v36 offset:256
	;; [unrolled: 1-line block ×7, first 2 shown]
	s_wait_dscnt 0x0
	s_barrier_signal -1
	s_barrier_wait -1
	ds_load_b128 v[42:45], v32
	v_wmma_f32_16x16x16_f16 v[34:41], v[78:81], v[20:23], 0
	s_wait_dscnt 0x0
	s_clause 0x1
	buffer_store_b64 v[42:43], v49, s[0:3], null offen
	buffer_store_b64 v[44:45], v47, s[0:3], null offen offset:136
	v_wmma_f32_16x16x16_f16 v[34:41], v[86:89], v[16:19], v[34:41]
	s_wait_dscnt 0x0
	s_barrier_signal -1
	s_barrier_wait -1
	v_add_lshl_u32 v47, v48, s4, 1
	v_cvt_f16_f32_e32 v34, v34
	v_cvt_f16_f32_e32 v35, v35
	v_cvt_f16_f32_e32 v36, v36
	v_cvt_f16_f32_e32 v37, v37
	v_cvt_f16_f32_e32 v38, v38
	v_cvt_f16_f32_e32 v39, v39
	v_cvt_f16_f32_e32 v40, v40
	v_cvt_f16_f32_e32 v41, v41
	ds_store_b16 v33, v34
	ds_store_b16 v33, v35 offset:128
	ds_store_b16 v33, v36 offset:256
	;; [unrolled: 1-line block ×7, first 2 shown]
	s_wait_dscnt 0x0
	s_barrier_signal -1
	s_barrier_wait -1
	ds_load_b128 v[42:45], v32
	v_wmma_f32_16x16x16_f16 v[34:41], v[78:81], v[0:3], 0
	s_delay_alu instid0(VALU_DEP_1) | instskip(NEXT) | instid1(VALU_DEP_1)
	v_wmma_f32_16x16x16_f16 v[34:41], v[86:89], v[4:7], v[34:41]
	v_cvt_f16_f32_e32 v34, v34
	s_delay_alu instid0(VALU_DEP_2) | instskip(NEXT) | instid1(VALU_DEP_3)
	v_cvt_f16_f32_e32 v35, v35
	v_cvt_f16_f32_e32 v36, v36
	s_delay_alu instid0(VALU_DEP_4)
	v_cvt_f16_f32_e32 v37, v37
	v_cvt_f16_f32_e32 v38, v38
	;; [unrolled: 1-line block ×5, first 2 shown]
	s_wait_dscnt 0x0
	buffer_store_b128 v[42:45], v47, s[0:3], null offen
	s_wait_dscnt 0x0
	s_barrier_signal -1
	s_barrier_wait -1
	ds_store_b16 v33, v34
	ds_store_b16 v33, v35 offset:128
	ds_store_b16 v33, v36 offset:256
	;; [unrolled: 1-line block ×7, first 2 shown]
	s_wait_dscnt 0x0
	s_barrier_signal -1
	s_barrier_wait -1
	ds_load_b128 v[42:45], v32
	v_wmma_f32_16x16x16_f16 v[34:41], v[24:27], v[0:3], 0
	v_lshlrev_b32_e32 v47, 1, v46
	v_add_nc_u32_e32 v46, s4, v46
	s_delay_alu instid0(VALU_DEP_3) | instskip(NEXT) | instid1(VALU_DEP_1)
	v_wmma_f32_16x16x16_f16 v[34:41], v[28:31], v[4:7], v[34:41]
	v_cvt_f16_f32_e32 v34, v34
	s_delay_alu instid0(VALU_DEP_2) | instskip(NEXT) | instid1(VALU_DEP_3)
	v_cvt_f16_f32_e32 v35, v35
	v_cvt_f16_f32_e32 v36, v36
	s_delay_alu instid0(VALU_DEP_4)
	v_cvt_f16_f32_e32 v37, v37
	v_cvt_f16_f32_e32 v38, v38
	;; [unrolled: 1-line block ×5, first 2 shown]
	s_wait_dscnt 0x0
	buffer_store_b128 v[42:45], v47, s[0:3], null offen
	s_wait_dscnt 0x0
	s_barrier_signal -1
	s_barrier_wait -1
	ds_store_b16 v33, v34
	ds_store_b16 v33, v35 offset:128
	ds_store_b16 v33, v36 offset:256
	ds_store_b16 v33, v37 offset:384
	ds_store_b16 v33, v38 offset:512
	ds_store_b16 v33, v39 offset:640
	ds_store_b16 v33, v40 offset:768
	ds_store_b16 v33, v41 offset:896
	s_wait_dscnt 0x0
	s_barrier_signal -1
	s_barrier_wait -1
	ds_load_b128 v[42:45], v32
	v_wmma_f32_16x16x16_f16 v[34:41], v[24:27], v[20:23], 0
	v_lshlrev_b32_e32 v47, 1, v46
	s_delay_alu instid0(VALU_DEP_2) | instskip(NEXT) | instid1(VALU_DEP_1)
	v_wmma_f32_16x16x16_f16 v[34:41], v[28:31], v[16:19], v[34:41]
	v_cvt_f16_f32_e32 v24, v34
	s_delay_alu instid0(VALU_DEP_2) | instskip(NEXT) | instid1(VALU_DEP_3)
	v_cvt_f16_f32_e32 v25, v35
	v_cvt_f16_f32_e32 v26, v36
	s_delay_alu instid0(VALU_DEP_4)
	v_cvt_f16_f32_e32 v27, v37
	v_cvt_f16_f32_e32 v28, v38
	;; [unrolled: 1-line block ×5, first 2 shown]
	v_add_nc_u32_e32 v38, 64, v46
	s_wait_dscnt 0x0
	buffer_store_b128 v[42:45], v47, s[0:3], null offen
	s_wait_dscnt 0x0
	s_barrier_signal -1
	s_barrier_wait -1
	ds_store_b16 v33, v24
	ds_store_b16 v33, v25 offset:128
	ds_store_b16 v33, v26 offset:256
	;; [unrolled: 1-line block ×7, first 2 shown]
	s_wait_dscnt 0x0
	s_barrier_signal -1
	s_barrier_wait -1
	ds_load_b128 v[34:37], v32
	v_wmma_f32_16x16x16_f16 v[24:31], v[8:11], v[20:23], 0
	s_delay_alu instid0(VALU_DEP_1)
	v_wmma_f32_16x16x16_f16 v[24:31], v[12:15], v[16:19], v[24:31]
	v_lshlrev_b32_e32 v16, 1, v38
	s_wait_dscnt 0x0
	s_clause 0x1
	buffer_store_b64 v[34:35], v16, s[0:3], null offen
	buffer_store_b64 v[36:37], v47, s[0:3], null offen offset:136
	v_cvt_f16_f32_e32 v17, v24
	v_cvt_f16_f32_e32 v18, v25
	;; [unrolled: 1-line block ×8, first 2 shown]
	s_wait_dscnt 0x0
	s_barrier_signal -1
	s_barrier_wait -1
	ds_store_b16 v33, v17
	ds_store_b16 v33, v18 offset:128
	ds_store_b16 v33, v19 offset:256
	;; [unrolled: 1-line block ×7, first 2 shown]
	s_wait_dscnt 0x0
	s_barrier_signal -1
	s_barrier_wait -1
	ds_load_b128 v[24:27], v32
	v_wmma_f32_16x16x16_f16 v[16:23], v[8:11], v[0:3], 0
	v_add_lshl_u32 v0, v38, s4, 1
	s_delay_alu instid0(VALU_DEP_2) | instskip(NEXT) | instid1(VALU_DEP_1)
	v_wmma_f32_16x16x16_f16 v[16:23], v[12:15], v[4:7], v[16:23]
	v_cvt_f16_f32_e32 v1, v16
	s_delay_alu instid0(VALU_DEP_2) | instskip(NEXT) | instid1(VALU_DEP_3)
	v_cvt_f16_f32_e32 v2, v17
	v_cvt_f16_f32_e32 v3, v18
	s_delay_alu instid0(VALU_DEP_4)
	v_cvt_f16_f32_e32 v4, v19
	v_cvt_f16_f32_e32 v5, v20
	;; [unrolled: 1-line block ×5, first 2 shown]
	s_wait_dscnt 0x0
	buffer_store_b128 v[24:27], v0, s[0:3], null offen
	s_wait_dscnt 0x0
	s_barrier_signal -1
	s_barrier_wait -1
	ds_store_b16 v33, v1
	ds_store_b16 v33, v2 offset:128
	ds_store_b16 v33, v3 offset:256
	;; [unrolled: 1-line block ×7, first 2 shown]
	s_wait_dscnt 0x0
	s_barrier_signal -1
	s_barrier_wait -1
	ds_load_b128 v[0:3], v32
	v_add_lshl_u32 v4, v46, s4, 1
	s_wait_dscnt 0x0
	buffer_store_b128 v[0:3], v4, s[0:3], null offen
	s_endpgm
.LBB4_149:
	s_mov_b32 s4, -1
	s_mov_b32 s12, exec_lo
	v_cmpx_eq_u16_e32 0x80, v11
; %bb.150:
	s_xor_b32 s4, exec_lo, -1
; %bb.151:
	s_or_b32 exec_lo, exec_lo, s12
	s_delay_alu instid0(SALU_CYCLE_1)
	s_and_b32 s4, s4, exec_lo
                                        ; implicit-def: $vgpr11
	s_wait_alu 0xfffe
	s_or_saveexec_b32 s9, s9
	v_mov_b32_e32 v6, 0x7c01
	s_wait_alu 0xfffe
	s_xor_b32 exec_lo, exec_lo, s9
	s_cbranch_execz .LBB4_18
.LBB4_152:
	v_cmp_ne_u16_e32 vcc_lo, 0, v11
	v_mov_b32_e32 v6, 0
	s_and_not1_b32 s4, s4, exec_lo
	s_and_b32 s12, vcc_lo, exec_lo
	s_delay_alu instid0(SALU_CYCLE_1)
	s_or_b32 s4, s4, s12
	s_or_b32 exec_lo, exec_lo, s9
	s_and_saveexec_b32 s9, s4
	s_cbranch_execnz .LBB4_19
	s_branch .LBB4_20
.LBB4_153:
	s_mov_b32 s4, -1
	s_mov_b32 s12, exec_lo
	v_cmpx_eq_u16_e32 0x80, v3
; %bb.154:
	s_xor_b32 s4, exec_lo, -1
; %bb.155:
	s_or_b32 exec_lo, exec_lo, s12
	s_delay_alu instid0(SALU_CYCLE_1)
	s_and_b32 s4, s4, exec_lo
                                        ; implicit-def: $vgpr3
	s_wait_alu 0xfffe
	s_or_saveexec_b32 s9, s9
	v_mov_b32_e32 v11, 0x7c01
	s_wait_alu 0xfffe
	s_xor_b32 exec_lo, exec_lo, s9
	s_cbranch_execz .LBB4_22
.LBB4_156:
	v_cmp_ne_u16_e32 vcc_lo, 0, v3
	v_mov_b32_e32 v11, 0
	s_and_not1_b32 s4, s4, exec_lo
	s_and_b32 s12, vcc_lo, exec_lo
	s_delay_alu instid0(SALU_CYCLE_1)
	s_or_b32 s4, s4, s12
	s_or_b32 exec_lo, exec_lo, s9
	s_and_saveexec_b32 s9, s4
	s_cbranch_execnz .LBB4_23
	s_branch .LBB4_24
.LBB4_157:
	s_mov_b32 s4, -1
	s_mov_b32 s12, exec_lo
	v_cmpx_eq_u16_e32 0x80, v3
; %bb.158:
	s_xor_b32 s4, exec_lo, -1
; %bb.159:
	s_or_b32 exec_lo, exec_lo, s12
	s_delay_alu instid0(SALU_CYCLE_1)
	s_and_b32 s4, s4, exec_lo
                                        ; implicit-def: $vgpr3
	s_wait_alu 0xfffe
	s_or_saveexec_b32 s9, s9
	v_mov_b32_e32 v12, 0x7c01
	s_wait_alu 0xfffe
	s_xor_b32 exec_lo, exec_lo, s9
	s_cbranch_execz .LBB4_26
.LBB4_160:
	v_cmp_ne_u16_e32 vcc_lo, 0, v3
	v_mov_b32_e32 v12, 0
	s_and_not1_b32 s4, s4, exec_lo
	s_and_b32 s12, vcc_lo, exec_lo
	s_delay_alu instid0(SALU_CYCLE_1)
	s_or_b32 s4, s4, s12
	s_or_b32 exec_lo, exec_lo, s9
	s_and_saveexec_b32 s9, s4
	s_cbranch_execnz .LBB4_27
	s_branch .LBB4_28
.LBB4_161:
	s_mov_b32 s4, -1
	s_mov_b32 s12, exec_lo
	v_cmpx_eq_u16_e32 0x80, v3
; %bb.162:
	s_xor_b32 s4, exec_lo, -1
; %bb.163:
	s_or_b32 exec_lo, exec_lo, s12
	s_delay_alu instid0(SALU_CYCLE_1)
	s_and_b32 s4, s4, exec_lo
                                        ; implicit-def: $vgpr3
	s_wait_alu 0xfffe
	s_or_saveexec_b32 s9, s9
	v_mov_b32_e32 v13, 0x7c01
	s_wait_alu 0xfffe
	s_xor_b32 exec_lo, exec_lo, s9
	s_cbranch_execz .LBB4_30
.LBB4_164:
	v_cmp_ne_u16_e32 vcc_lo, 0, v3
	v_mov_b32_e32 v13, 0
	s_and_not1_b32 s4, s4, exec_lo
	s_and_b32 s12, vcc_lo, exec_lo
	s_delay_alu instid0(SALU_CYCLE_1)
	s_or_b32 s4, s4, s12
	s_or_b32 exec_lo, exec_lo, s9
	s_and_saveexec_b32 s9, s4
	s_cbranch_execnz .LBB4_31
	s_branch .LBB4_32
.LBB4_165:
	s_mov_b32 s4, -1
	s_mov_b32 s12, exec_lo
	v_cmpx_eq_u16_e32 0x80, v3
; %bb.166:
	s_xor_b32 s4, exec_lo, -1
; %bb.167:
	s_or_b32 exec_lo, exec_lo, s12
	s_delay_alu instid0(SALU_CYCLE_1)
	s_and_b32 s4, s4, exec_lo
                                        ; implicit-def: $vgpr3
	s_wait_alu 0xfffe
	s_or_saveexec_b32 s9, s9
	v_mov_b32_e32 v14, 0x7c01
	s_wait_alu 0xfffe
	s_xor_b32 exec_lo, exec_lo, s9
	s_cbranch_execz .LBB4_34
.LBB4_168:
	v_cmp_ne_u16_e32 vcc_lo, 0, v3
	v_mov_b32_e32 v14, 0
	s_and_not1_b32 s4, s4, exec_lo
	s_and_b32 s12, vcc_lo, exec_lo
	s_delay_alu instid0(SALU_CYCLE_1)
	s_or_b32 s4, s4, s12
	s_or_b32 exec_lo, exec_lo, s9
	s_and_saveexec_b32 s9, s4
	s_cbranch_execnz .LBB4_35
	s_branch .LBB4_36
.LBB4_169:
	s_mov_b32 s9, -1
	s_mov_b32 s12, exec_lo
	v_cmpx_eq_u16_e32 0x80, v16
; %bb.170:
	s_xor_b32 s9, exec_lo, -1
; %bb.171:
	s_or_b32 exec_lo, exec_lo, s12
	s_wait_alu 0xfffe
	s_and_b32 s9, s9, exec_lo
	s_or_saveexec_b32 s4, s4
	v_mov_b32_e32 v15, 0x7c01
	s_xor_b32 exec_lo, exec_lo, s4
	s_cbranch_execz .LBB4_38
.LBB4_172:
	v_cmp_ne_u16_e32 vcc_lo, 0, v16
	v_mov_b32_e32 v15, 0
	s_wait_alu 0xfffe
	s_and_not1_b32 s9, s9, exec_lo
	s_and_b32 s12, vcc_lo, exec_lo
	s_wait_alu 0xfffe
	s_or_b32 s9, s9, s12
	s_or_b32 exec_lo, exec_lo, s4
	s_wait_alu 0xfffe
	s_and_saveexec_b32 s4, s9
	s_cbranch_execnz .LBB4_39
	s_branch .LBB4_40
.LBB4_173:
	s_mov_b32 s4, -1
	s_mov_b32 s12, exec_lo
	v_cmpx_eq_u16_e32 0x80, v4
; %bb.174:
	s_xor_b32 s4, exec_lo, -1
; %bb.175:
	s_or_b32 exec_lo, exec_lo, s12
	s_delay_alu instid0(SALU_CYCLE_1)
	s_and_b32 s4, s4, exec_lo
                                        ; implicit-def: $vgpr4
	s_wait_alu 0xfffe
	s_or_saveexec_b32 s9, s9
	v_mov_b32_e32 v16, 0x7c01
	s_wait_alu 0xfffe
	s_xor_b32 exec_lo, exec_lo, s9
	s_cbranch_execz .LBB4_42
.LBB4_176:
	v_cmp_ne_u16_e32 vcc_lo, 0, v4
	v_mov_b32_e32 v16, 0
	s_and_not1_b32 s4, s4, exec_lo
	s_and_b32 s12, vcc_lo, exec_lo
	s_delay_alu instid0(SALU_CYCLE_1)
	s_or_b32 s4, s4, s12
	s_or_b32 exec_lo, exec_lo, s9
	s_and_saveexec_b32 s9, s4
	s_cbranch_execnz .LBB4_43
	s_branch .LBB4_44
.LBB4_177:
	s_mov_b32 s4, -1
	s_mov_b32 s12, exec_lo
	v_cmpx_eq_u16_e32 0x80, v19
; %bb.178:
	s_xor_b32 s4, exec_lo, -1
; %bb.179:
	s_or_b32 exec_lo, exec_lo, s12
	s_delay_alu instid0(SALU_CYCLE_1)
	s_and_b32 s4, s4, exec_lo
                                        ; implicit-def: $vgpr19
	s_wait_alu 0xfffe
	s_or_saveexec_b32 s9, s9
	v_mov_b32_e32 v18, 0x7c01
	s_wait_alu 0xfffe
	s_xor_b32 exec_lo, exec_lo, s9
	s_cbranch_execz .LBB4_54
.LBB4_180:
	v_cmp_ne_u16_e32 vcc_lo, 0, v19
	v_mov_b32_e32 v18, 0
	s_and_not1_b32 s4, s4, exec_lo
	s_and_b32 s12, vcc_lo, exec_lo
	s_delay_alu instid0(SALU_CYCLE_1)
	s_or_b32 s4, s4, s12
	s_or_b32 exec_lo, exec_lo, s9
	s_and_saveexec_b32 s9, s4
	s_cbranch_execnz .LBB4_55
	s_branch .LBB4_56
.LBB4_181:
	s_mov_b32 s4, -1
	s_mov_b32 s12, exec_lo
	v_cmpx_eq_u16_e32 0x80, v2
; %bb.182:
	s_xor_b32 s4, exec_lo, -1
; %bb.183:
	s_or_b32 exec_lo, exec_lo, s12
	s_delay_alu instid0(SALU_CYCLE_1)
	s_and_b32 s4, s4, exec_lo
                                        ; implicit-def: $vgpr2
	s_wait_alu 0xfffe
	s_or_saveexec_b32 s9, s9
	v_mov_b32_e32 v19, 0x7c01
	s_wait_alu 0xfffe
	s_xor_b32 exec_lo, exec_lo, s9
	s_cbranch_execz .LBB4_58
.LBB4_184:
	v_cmp_ne_u16_e32 vcc_lo, 0, v2
	v_mov_b32_e32 v19, 0
	s_and_not1_b32 s4, s4, exec_lo
	s_and_b32 s12, vcc_lo, exec_lo
	s_delay_alu instid0(SALU_CYCLE_1)
	s_or_b32 s4, s4, s12
	s_or_b32 exec_lo, exec_lo, s9
	s_and_saveexec_b32 s9, s4
	s_cbranch_execnz .LBB4_59
	s_branch .LBB4_60
.LBB4_185:
	s_mov_b32 s4, -1
	s_mov_b32 s12, exec_lo
	v_cmpx_eq_u16_e32 0x80, v2
; %bb.186:
	s_xor_b32 s4, exec_lo, -1
; %bb.187:
	s_or_b32 exec_lo, exec_lo, s12
	s_delay_alu instid0(SALU_CYCLE_1)
	s_and_b32 s4, s4, exec_lo
                                        ; implicit-def: $vgpr2
	s_wait_alu 0xfffe
	s_or_saveexec_b32 s9, s9
	v_mov_b32_e32 v20, 0x7c01
	s_wait_alu 0xfffe
	s_xor_b32 exec_lo, exec_lo, s9
	s_cbranch_execz .LBB4_62
.LBB4_188:
	v_cmp_ne_u16_e32 vcc_lo, 0, v2
	v_mov_b32_e32 v20, 0
	s_and_not1_b32 s4, s4, exec_lo
	s_and_b32 s12, vcc_lo, exec_lo
	s_delay_alu instid0(SALU_CYCLE_1)
	s_or_b32 s4, s4, s12
	s_or_b32 exec_lo, exec_lo, s9
	s_and_saveexec_b32 s9, s4
	s_cbranch_execnz .LBB4_63
	s_branch .LBB4_64
.LBB4_189:
	s_mov_b32 s4, -1
	s_mov_b32 s12, exec_lo
	v_cmpx_eq_u16_e32 0x80, v2
; %bb.190:
	s_xor_b32 s4, exec_lo, -1
; %bb.191:
	s_or_b32 exec_lo, exec_lo, s12
	s_delay_alu instid0(SALU_CYCLE_1)
	s_and_b32 s4, s4, exec_lo
                                        ; implicit-def: $vgpr2
	s_wait_alu 0xfffe
	s_or_saveexec_b32 s9, s9
	v_mov_b32_e32 v21, 0x7c01
	s_wait_alu 0xfffe
	s_xor_b32 exec_lo, exec_lo, s9
	s_cbranch_execz .LBB4_66
.LBB4_192:
	v_cmp_ne_u16_e32 vcc_lo, 0, v2
	v_mov_b32_e32 v21, 0
	s_and_not1_b32 s4, s4, exec_lo
	s_and_b32 s12, vcc_lo, exec_lo
	s_delay_alu instid0(SALU_CYCLE_1)
	s_or_b32 s4, s4, s12
	s_or_b32 exec_lo, exec_lo, s9
	s_and_saveexec_b32 s9, s4
	s_cbranch_execnz .LBB4_67
	s_branch .LBB4_68
.LBB4_193:
	s_mov_b32 s4, -1
	s_mov_b32 s12, exec_lo
	v_cmpx_eq_u16_e32 0x80, v2
; %bb.194:
	s_xor_b32 s4, exec_lo, -1
; %bb.195:
	s_or_b32 exec_lo, exec_lo, s12
	s_delay_alu instid0(SALU_CYCLE_1)
	s_and_b32 s4, s4, exec_lo
                                        ; implicit-def: $vgpr2
	s_wait_alu 0xfffe
	s_or_saveexec_b32 s9, s9
	v_mov_b32_e32 v22, 0x7c01
	s_wait_alu 0xfffe
	s_xor_b32 exec_lo, exec_lo, s9
	s_cbranch_execz .LBB4_70
.LBB4_196:
	v_cmp_ne_u16_e32 vcc_lo, 0, v2
	v_mov_b32_e32 v22, 0
	s_and_not1_b32 s4, s4, exec_lo
	s_and_b32 s12, vcc_lo, exec_lo
	s_delay_alu instid0(SALU_CYCLE_1)
	s_or_b32 s4, s4, s12
	s_or_b32 exec_lo, exec_lo, s9
	s_and_saveexec_b32 s9, s4
	s_cbranch_execnz .LBB4_71
	s_branch .LBB4_72
.LBB4_197:
	s_mov_b32 s9, -1
	s_mov_b32 s12, exec_lo
	v_cmpx_eq_u16_e32 0x80, v5
; %bb.198:
	s_xor_b32 s9, exec_lo, -1
; %bb.199:
	s_or_b32 exec_lo, exec_lo, s12
	s_wait_alu 0xfffe
	s_and_b32 s9, s9, exec_lo
	s_or_saveexec_b32 s4, s4
	v_mov_b32_e32 v23, 0x7c01
	s_xor_b32 exec_lo, exec_lo, s4
	s_cbranch_execz .LBB4_74
.LBB4_200:
	v_cmp_ne_u16_e32 vcc_lo, 0, v5
	v_mov_b32_e32 v23, 0
	s_wait_alu 0xfffe
	s_and_not1_b32 s9, s9, exec_lo
	s_and_b32 s12, vcc_lo, exec_lo
	s_wait_alu 0xfffe
	s_or_b32 s9, s9, s12
	s_or_b32 exec_lo, exec_lo, s4
	s_wait_alu 0xfffe
	s_and_saveexec_b32 s4, s9
	s_cbranch_execnz .LBB4_75
	s_branch .LBB4_76
.LBB4_201:
	s_mov_b32 s4, -1
	s_mov_b32 s12, exec_lo
	v_cmpx_eq_u16_e32 0x80, v4
; %bb.202:
	s_xor_b32 s4, exec_lo, -1
; %bb.203:
	s_or_b32 exec_lo, exec_lo, s12
	s_delay_alu instid0(SALU_CYCLE_1)
	s_and_b32 s4, s4, exec_lo
                                        ; implicit-def: $vgpr4
	s_wait_alu 0xfffe
	s_or_saveexec_b32 s9, s9
	v_mov_b32_e32 v24, 0x7c01
	s_wait_alu 0xfffe
	s_xor_b32 exec_lo, exec_lo, s9
	s_cbranch_execz .LBB4_78
.LBB4_204:
	v_cmp_ne_u16_e32 vcc_lo, 0, v4
	v_mov_b32_e32 v24, 0
	s_and_not1_b32 s4, s4, exec_lo
	s_and_b32 s12, vcc_lo, exec_lo
	s_delay_alu instid0(SALU_CYCLE_1)
	s_or_b32 s4, s4, s12
	s_or_b32 exec_lo, exec_lo, s9
	s_and_saveexec_b32 s9, s4
	s_cbranch_execnz .LBB4_79
	s_branch .LBB4_80
.LBB4_205:
	s_mov_b32 s4, -1
	s_mov_b32 s12, exec_lo
	v_cmpx_eq_u16_e32 0x80, v27
; %bb.206:
	s_xor_b32 s4, exec_lo, -1
; %bb.207:
	s_or_b32 exec_lo, exec_lo, s12
	s_delay_alu instid0(SALU_CYCLE_1)
	s_and_b32 s4, s4, exec_lo
                                        ; implicit-def: $vgpr27
	s_wait_alu 0xfffe
	s_or_saveexec_b32 s9, s9
	v_mov_b32_e32 v26, 0x7c01
	s_wait_alu 0xfffe
	s_xor_b32 exec_lo, exec_lo, s9
	s_cbranch_execz .LBB4_90
.LBB4_208:
	v_cmp_ne_u16_e32 vcc_lo, 0, v27
	v_mov_b32_e32 v26, 0
	s_and_not1_b32 s4, s4, exec_lo
	s_and_b32 s12, vcc_lo, exec_lo
	s_delay_alu instid0(SALU_CYCLE_1)
	s_or_b32 s4, s4, s12
	s_or_b32 exec_lo, exec_lo, s9
	s_and_saveexec_b32 s9, s4
	s_cbranch_execnz .LBB4_91
	s_branch .LBB4_92
.LBB4_209:
	s_mov_b32 s4, -1
	s_mov_b32 s12, exec_lo
	v_cmpx_eq_u16_e32 0x80, v2
; %bb.210:
	s_xor_b32 s4, exec_lo, -1
; %bb.211:
	s_or_b32 exec_lo, exec_lo, s12
	s_delay_alu instid0(SALU_CYCLE_1)
	s_and_b32 s4, s4, exec_lo
                                        ; implicit-def: $vgpr2
	s_wait_alu 0xfffe
	s_or_saveexec_b32 s9, s9
	v_mov_b32_e32 v27, 0x7c01
	s_wait_alu 0xfffe
	s_xor_b32 exec_lo, exec_lo, s9
	s_cbranch_execz .LBB4_94
.LBB4_212:
	v_cmp_ne_u16_e32 vcc_lo, 0, v2
	v_mov_b32_e32 v27, 0
	s_and_not1_b32 s4, s4, exec_lo
	s_and_b32 s12, vcc_lo, exec_lo
	s_delay_alu instid0(SALU_CYCLE_1)
	s_or_b32 s4, s4, s12
	s_or_b32 exec_lo, exec_lo, s9
	s_and_saveexec_b32 s9, s4
	s_cbranch_execnz .LBB4_95
	s_branch .LBB4_96
.LBB4_213:
	s_mov_b32 s4, -1
	s_mov_b32 s12, exec_lo
	v_cmpx_eq_u16_e32 0x80, v2
; %bb.214:
	s_xor_b32 s4, exec_lo, -1
; %bb.215:
	s_or_b32 exec_lo, exec_lo, s12
	s_delay_alu instid0(SALU_CYCLE_1)
	s_and_b32 s4, s4, exec_lo
                                        ; implicit-def: $vgpr2
	s_wait_alu 0xfffe
	s_or_saveexec_b32 s9, s9
	v_mov_b32_e32 v28, 0x7c01
	s_wait_alu 0xfffe
	s_xor_b32 exec_lo, exec_lo, s9
	s_cbranch_execz .LBB4_98
.LBB4_216:
	v_cmp_ne_u16_e32 vcc_lo, 0, v2
	v_mov_b32_e32 v28, 0
	s_and_not1_b32 s4, s4, exec_lo
	s_and_b32 s12, vcc_lo, exec_lo
	s_delay_alu instid0(SALU_CYCLE_1)
	s_or_b32 s4, s4, s12
	s_or_b32 exec_lo, exec_lo, s9
	s_and_saveexec_b32 s9, s4
	s_cbranch_execnz .LBB4_99
	s_branch .LBB4_100
.LBB4_217:
	s_mov_b32 s4, -1
	s_mov_b32 s12, exec_lo
	v_cmpx_eq_u16_e32 0x80, v2
; %bb.218:
	s_xor_b32 s4, exec_lo, -1
; %bb.219:
	s_or_b32 exec_lo, exec_lo, s12
	s_delay_alu instid0(SALU_CYCLE_1)
	s_and_b32 s4, s4, exec_lo
                                        ; implicit-def: $vgpr2
	s_wait_alu 0xfffe
	s_or_saveexec_b32 s9, s9
	v_mov_b32_e32 v29, 0x7c01
	s_wait_alu 0xfffe
	s_xor_b32 exec_lo, exec_lo, s9
	s_cbranch_execz .LBB4_102
.LBB4_220:
	v_cmp_ne_u16_e32 vcc_lo, 0, v2
	v_mov_b32_e32 v29, 0
	s_and_not1_b32 s4, s4, exec_lo
	s_and_b32 s12, vcc_lo, exec_lo
	s_delay_alu instid0(SALU_CYCLE_1)
	s_or_b32 s4, s4, s12
	s_or_b32 exec_lo, exec_lo, s9
	s_and_saveexec_b32 s9, s4
	s_cbranch_execnz .LBB4_103
	s_branch .LBB4_104
.LBB4_221:
	s_mov_b32 s4, -1
	s_mov_b32 s12, exec_lo
	v_cmpx_eq_u16_e32 0x80, v2
; %bb.222:
	s_xor_b32 s4, exec_lo, -1
; %bb.223:
	s_or_b32 exec_lo, exec_lo, s12
	s_delay_alu instid0(SALU_CYCLE_1)
	s_and_b32 s4, s4, exec_lo
                                        ; implicit-def: $vgpr2
	s_wait_alu 0xfffe
	s_or_saveexec_b32 s9, s9
	v_mov_b32_e32 v30, 0x7c01
	s_wait_alu 0xfffe
	s_xor_b32 exec_lo, exec_lo, s9
	s_cbranch_execz .LBB4_106
.LBB4_224:
	v_cmp_ne_u16_e32 vcc_lo, 0, v2
	v_mov_b32_e32 v30, 0
	s_and_not1_b32 s4, s4, exec_lo
	s_and_b32 s12, vcc_lo, exec_lo
	s_delay_alu instid0(SALU_CYCLE_1)
	s_or_b32 s4, s4, s12
	s_or_b32 exec_lo, exec_lo, s9
	s_and_saveexec_b32 s9, s4
	s_cbranch_execnz .LBB4_107
	s_branch .LBB4_108
.LBB4_225:
	s_mov_b32 s9, -1
	s_mov_b32 s12, exec_lo
	v_cmpx_eq_u16_e32 0x80, v5
; %bb.226:
	s_xor_b32 s9, exec_lo, -1
; %bb.227:
	s_or_b32 exec_lo, exec_lo, s12
	s_wait_alu 0xfffe
	s_and_b32 s9, s9, exec_lo
	s_or_saveexec_b32 s4, s4
	v_mov_b32_e32 v31, 0x7c01
	s_xor_b32 exec_lo, exec_lo, s4
	s_cbranch_execz .LBB4_110
.LBB4_228:
	v_cmp_ne_u16_e32 vcc_lo, 0, v5
	v_mov_b32_e32 v31, 0
	s_wait_alu 0xfffe
	s_and_not1_b32 s9, s9, exec_lo
	s_and_b32 s12, vcc_lo, exec_lo
	s_wait_alu 0xfffe
	s_or_b32 s9, s9, s12
	s_or_b32 exec_lo, exec_lo, s4
	s_wait_alu 0xfffe
	s_and_saveexec_b32 s4, s9
	s_cbranch_execnz .LBB4_111
	s_branch .LBB4_112
.LBB4_229:
	s_mov_b32 s4, -1
	s_mov_b32 s8, exec_lo
	v_cmpx_eq_u16_e32 0x80, v4
; %bb.230:
	s_xor_b32 s4, exec_lo, -1
; %bb.231:
	s_wait_alu 0xfffe
	s_or_b32 exec_lo, exec_lo, s8
	s_delay_alu instid0(SALU_CYCLE_1)
	s_and_b32 s4, s4, exec_lo
                                        ; implicit-def: $vgpr4
	s_or_saveexec_b32 s7, s7
	v_mov_b32_e32 v32, 0x7c01
	s_wait_alu 0xfffe
	s_xor_b32 exec_lo, exec_lo, s7
	s_cbranch_execz .LBB4_114
.LBB4_232:
	v_cmp_ne_u16_e32 vcc_lo, 0, v4
	v_mov_b32_e32 v32, 0
	s_and_not1_b32 s4, s4, exec_lo
	s_and_b32 s8, vcc_lo, exec_lo
	s_wait_alu 0xfffe
	s_or_b32 s4, s4, s8
	s_or_b32 exec_lo, exec_lo, s7
	s_and_saveexec_b32 s7, s4
	s_cbranch_execnz .LBB4_115
	s_branch .LBB4_116
.LBB4_233:
	s_mov_b32 s4, -1
	s_mov_b32 s8, exec_lo
	v_cmpx_eq_u16_e32 0x80, v37
; %bb.234:
	s_xor_b32 s4, exec_lo, -1
; %bb.235:
	s_wait_alu 0xfffe
	s_or_b32 exec_lo, exec_lo, s8
	s_delay_alu instid0(SALU_CYCLE_1)
	s_and_b32 s4, s4, exec_lo
                                        ; implicit-def: $vgpr37
	s_or_saveexec_b32 s7, s7
	v_mov_b32_e32 v2, 0x7c01
	s_wait_alu 0xfffe
	s_xor_b32 exec_lo, exec_lo, s7
	s_cbranch_execz .LBB4_126
.LBB4_236:
	v_cmp_ne_u16_e32 vcc_lo, 0, v37
	v_mov_b32_e32 v2, 0
	s_and_not1_b32 s4, s4, exec_lo
	s_and_b32 s8, vcc_lo, exec_lo
	s_wait_alu 0xfffe
	s_or_b32 s4, s4, s8
	s_or_b32 exec_lo, exec_lo, s7
	s_and_saveexec_b32 s7, s4
	s_cbranch_execnz .LBB4_127
	s_branch .LBB4_128
.LBB4_237:
	s_mov_b32 s4, -1
	s_mov_b32 s8, exec_lo
	v_cmpx_eq_u16_e32 0x80, v37
; %bb.238:
	s_xor_b32 s4, exec_lo, -1
; %bb.239:
	s_wait_alu 0xfffe
	s_or_b32 exec_lo, exec_lo, s8
	s_delay_alu instid0(SALU_CYCLE_1)
	s_and_b32 s4, s4, exec_lo
                                        ; implicit-def: $vgpr37
	s_or_saveexec_b32 s7, s7
	v_mov_b32_e32 v35, 0x7c01
	s_wait_alu 0xfffe
	s_xor_b32 exec_lo, exec_lo, s7
	s_cbranch_execz .LBB4_130
.LBB4_240:
	v_cmp_ne_u16_e32 vcc_lo, 0, v37
	v_mov_b32_e32 v35, 0
	s_and_not1_b32 s4, s4, exec_lo
	s_and_b32 s8, vcc_lo, exec_lo
	s_wait_alu 0xfffe
	s_or_b32 s4, s4, s8
	s_or_b32 exec_lo, exec_lo, s7
	s_and_saveexec_b32 s7, s4
	s_cbranch_execnz .LBB4_131
	s_branch .LBB4_132
.LBB4_241:
	s_mov_b32 s4, -1
	s_mov_b32 s8, exec_lo
	v_cmpx_eq_u16_e32 0x80, v37
; %bb.242:
	s_xor_b32 s4, exec_lo, -1
; %bb.243:
	s_wait_alu 0xfffe
	s_or_b32 exec_lo, exec_lo, s8
	s_delay_alu instid0(SALU_CYCLE_1)
	s_and_b32 s4, s4, exec_lo
                                        ; implicit-def: $vgpr37
	s_or_saveexec_b32 s7, s7
	v_mov_b32_e32 v4, 0x7c01
	s_wait_alu 0xfffe
	s_xor_b32 exec_lo, exec_lo, s7
	s_cbranch_execz .LBB4_134
.LBB4_244:
	v_cmp_ne_u16_e32 vcc_lo, 0, v37
	v_mov_b32_e32 v4, 0
	s_and_not1_b32 s4, s4, exec_lo
	s_and_b32 s8, vcc_lo, exec_lo
	s_wait_alu 0xfffe
	s_or_b32 s4, s4, s8
	s_or_b32 exec_lo, exec_lo, s7
	s_and_saveexec_b32 s7, s4
	s_cbranch_execnz .LBB4_135
	s_branch .LBB4_136
.LBB4_245:
	s_mov_b32 s4, -1
	s_mov_b32 s8, exec_lo
	v_cmpx_eq_u16_e32 0x80, v37
; %bb.246:
	s_xor_b32 s4, exec_lo, -1
; %bb.247:
	s_wait_alu 0xfffe
	s_or_b32 exec_lo, exec_lo, s8
	s_delay_alu instid0(SALU_CYCLE_1)
	s_and_b32 s4, s4, exec_lo
                                        ; implicit-def: $vgpr37
	s_or_saveexec_b32 s7, s7
	v_mov_b32_e32 v3, 0x7c01
	s_wait_alu 0xfffe
	s_xor_b32 exec_lo, exec_lo, s7
	s_cbranch_execz .LBB4_138
.LBB4_248:
	v_cmp_ne_u16_e32 vcc_lo, 0, v37
	v_mov_b32_e32 v3, 0
	s_and_not1_b32 s4, s4, exec_lo
	s_and_b32 s8, vcc_lo, exec_lo
	s_wait_alu 0xfffe
	s_or_b32 s4, s4, s8
	s_or_b32 exec_lo, exec_lo, s7
	s_and_saveexec_b32 s7, s4
	s_cbranch_execnz .LBB4_139
	s_branch .LBB4_140
.LBB4_249:
	s_mov_b32 s4, -1
	s_mov_b32 s8, exec_lo
	v_cmpx_eq_u16_e32 0x80, v37
; %bb.250:
	s_xor_b32 s4, exec_lo, -1
; %bb.251:
	s_wait_alu 0xfffe
	s_or_b32 exec_lo, exec_lo, s8
	s_delay_alu instid0(SALU_CYCLE_1)
	s_and_b32 s4, s4, exec_lo
                                        ; implicit-def: $vgpr37
	s_or_saveexec_b32 s7, s7
	v_mov_b32_e32 v36, 0x7c01
	s_wait_alu 0xfffe
	s_xor_b32 exec_lo, exec_lo, s7
	s_cbranch_execz .LBB4_142
.LBB4_252:
	v_cmp_ne_u16_e32 vcc_lo, 0, v37
	v_mov_b32_e32 v36, 0
	s_and_not1_b32 s4, s4, exec_lo
	s_and_b32 s8, vcc_lo, exec_lo
	s_wait_alu 0xfffe
	s_or_b32 s4, s4, s8
	s_or_b32 exec_lo, exec_lo, s7
	s_and_saveexec_b32 s7, s4
	s_cbranch_execnz .LBB4_143
	s_branch .LBB4_144
.LBB4_253:
	s_mov_b32 s7, -1
	s_mov_b32 s8, exec_lo
	v_cmpx_eq_u16_e32 0x80, v5
; %bb.254:
	s_xor_b32 s7, exec_lo, -1
; %bb.255:
	s_wait_alu 0xfffe
	s_or_b32 exec_lo, exec_lo, s8
	s_delay_alu instid0(SALU_CYCLE_1)
	s_and_b32 s7, s7, exec_lo
	s_or_saveexec_b32 s4, s4
	v_mov_b32_e32 v34, 0x7c01
	s_xor_b32 exec_lo, exec_lo, s4
	s_cbranch_execz .LBB4_146
.LBB4_256:
	v_cmp_ne_u16_e32 vcc_lo, 0, v5
	v_mov_b32_e32 v34, 0
	s_wait_alu 0xfffe
	s_and_not1_b32 s7, s7, exec_lo
	s_and_b32 s8, vcc_lo, exec_lo
	s_wait_alu 0xfffe
	s_or_b32 s7, s7, s8
	s_or_b32 exec_lo, exec_lo, s4
	s_wait_alu 0xfffe
	s_and_saveexec_b32 s4, s7
	s_cbranch_execnz .LBB4_147
	s_branch .LBB4_148
	.section	.rodata,"a",@progbits
	.p2align	6, 0x0
	.amdhsa_kernel _ZN2ck27kernel_gemm_xdl_cshuffle_v1INS_43GridwiseGemm_k0mk1_k0nk1_mn_xdl_cshuffle_v1INS_13tensor_layout4gemm8RowMajorENS3_11ColumnMajorES4_NS_9f8_fnuz_tEDF16_fDF16_DF16_NS_16tensor_operation12element_wise11PassThroughES9_S9_LNS7_6device18GemmSpecializationE0ELNS_25InMemoryDataOperationEnumE0ELi1ELi256ELi256ELi128ELi32ELi8ELi8ELi16ELi16ELi8ELi2ENS_8SequenceIJLi4ELi64ELi1EEEENSD_IJLi1ELi0ELi2EEEESF_Li2ELi8ELi8ELb0ELi1ESE_SF_SF_Li2ELi8ELi8ELb0ELi1ELi1ELi1ENSD_IJLi1ELi32ELi1ELi8EEEELi4ELNS_13LoopSchedulerE0ELNS_15PipelineVersionE0EDF16_DF16_EELb0EEEvNT_8ArgumentE
		.amdhsa_group_segment_fixed_size 24672
		.amdhsa_private_segment_fixed_size 0
		.amdhsa_kernarg_size 96
		.amdhsa_user_sgpr_count 2
		.amdhsa_user_sgpr_dispatch_ptr 0
		.amdhsa_user_sgpr_queue_ptr 0
		.amdhsa_user_sgpr_kernarg_segment_ptr 1
		.amdhsa_user_sgpr_dispatch_id 0
		.amdhsa_user_sgpr_private_segment_size 0
		.amdhsa_wavefront_size32 1
		.amdhsa_uses_dynamic_stack 0
		.amdhsa_enable_private_segment 0
		.amdhsa_system_sgpr_workgroup_id_x 1
		.amdhsa_system_sgpr_workgroup_id_y 0
		.amdhsa_system_sgpr_workgroup_id_z 0
		.amdhsa_system_sgpr_workgroup_info 0
		.amdhsa_system_vgpr_workitem_id 0
		.amdhsa_next_free_vgpr 121
		.amdhsa_next_free_sgpr 22
		.amdhsa_reserve_vcc 1
		.amdhsa_float_round_mode_32 0
		.amdhsa_float_round_mode_16_64 0
		.amdhsa_float_denorm_mode_32 3
		.amdhsa_float_denorm_mode_16_64 3
		.amdhsa_fp16_overflow 0
		.amdhsa_workgroup_processor_mode 1
		.amdhsa_memory_ordered 1
		.amdhsa_forward_progress 1
		.amdhsa_inst_pref_size 113
		.amdhsa_round_robin_scheduling 0
		.amdhsa_exception_fp_ieee_invalid_op 0
		.amdhsa_exception_fp_denorm_src 0
		.amdhsa_exception_fp_ieee_div_zero 0
		.amdhsa_exception_fp_ieee_overflow 0
		.amdhsa_exception_fp_ieee_underflow 0
		.amdhsa_exception_fp_ieee_inexact 0
		.amdhsa_exception_int_div_zero 0
	.end_amdhsa_kernel
	.section	.text._ZN2ck27kernel_gemm_xdl_cshuffle_v1INS_43GridwiseGemm_k0mk1_k0nk1_mn_xdl_cshuffle_v1INS_13tensor_layout4gemm8RowMajorENS3_11ColumnMajorES4_NS_9f8_fnuz_tEDF16_fDF16_DF16_NS_16tensor_operation12element_wise11PassThroughES9_S9_LNS7_6device18GemmSpecializationE0ELNS_25InMemoryDataOperationEnumE0ELi1ELi256ELi256ELi128ELi32ELi8ELi8ELi16ELi16ELi8ELi2ENS_8SequenceIJLi4ELi64ELi1EEEENSD_IJLi1ELi0ELi2EEEESF_Li2ELi8ELi8ELb0ELi1ESE_SF_SF_Li2ELi8ELi8ELb0ELi1ELi1ELi1ENSD_IJLi1ELi32ELi1ELi8EEEELi4ELNS_13LoopSchedulerE0ELNS_15PipelineVersionE0EDF16_DF16_EELb0EEEvNT_8ArgumentE,"axG",@progbits,_ZN2ck27kernel_gemm_xdl_cshuffle_v1INS_43GridwiseGemm_k0mk1_k0nk1_mn_xdl_cshuffle_v1INS_13tensor_layout4gemm8RowMajorENS3_11ColumnMajorES4_NS_9f8_fnuz_tEDF16_fDF16_DF16_NS_16tensor_operation12element_wise11PassThroughES9_S9_LNS7_6device18GemmSpecializationE0ELNS_25InMemoryDataOperationEnumE0ELi1ELi256ELi256ELi128ELi32ELi8ELi8ELi16ELi16ELi8ELi2ENS_8SequenceIJLi4ELi64ELi1EEEENSD_IJLi1ELi0ELi2EEEESF_Li2ELi8ELi8ELb0ELi1ESE_SF_SF_Li2ELi8ELi8ELb0ELi1ELi1ELi1ENSD_IJLi1ELi32ELi1ELi8EEEELi4ELNS_13LoopSchedulerE0ELNS_15PipelineVersionE0EDF16_DF16_EELb0EEEvNT_8ArgumentE,comdat
.Lfunc_end4:
	.size	_ZN2ck27kernel_gemm_xdl_cshuffle_v1INS_43GridwiseGemm_k0mk1_k0nk1_mn_xdl_cshuffle_v1INS_13tensor_layout4gemm8RowMajorENS3_11ColumnMajorES4_NS_9f8_fnuz_tEDF16_fDF16_DF16_NS_16tensor_operation12element_wise11PassThroughES9_S9_LNS7_6device18GemmSpecializationE0ELNS_25InMemoryDataOperationEnumE0ELi1ELi256ELi256ELi128ELi32ELi8ELi8ELi16ELi16ELi8ELi2ENS_8SequenceIJLi4ELi64ELi1EEEENSD_IJLi1ELi0ELi2EEEESF_Li2ELi8ELi8ELb0ELi1ESE_SF_SF_Li2ELi8ELi8ELb0ELi1ELi1ELi1ENSD_IJLi1ELi32ELi1ELi8EEEELi4ELNS_13LoopSchedulerE0ELNS_15PipelineVersionE0EDF16_DF16_EELb0EEEvNT_8ArgumentE, .Lfunc_end4-_ZN2ck27kernel_gemm_xdl_cshuffle_v1INS_43GridwiseGemm_k0mk1_k0nk1_mn_xdl_cshuffle_v1INS_13tensor_layout4gemm8RowMajorENS3_11ColumnMajorES4_NS_9f8_fnuz_tEDF16_fDF16_DF16_NS_16tensor_operation12element_wise11PassThroughES9_S9_LNS7_6device18GemmSpecializationE0ELNS_25InMemoryDataOperationEnumE0ELi1ELi256ELi256ELi128ELi32ELi8ELi8ELi16ELi16ELi8ELi2ENS_8SequenceIJLi4ELi64ELi1EEEENSD_IJLi1ELi0ELi2EEEESF_Li2ELi8ELi8ELb0ELi1ESE_SF_SF_Li2ELi8ELi8ELb0ELi1ELi1ELi1ENSD_IJLi1ELi32ELi1ELi8EEEELi4ELNS_13LoopSchedulerE0ELNS_15PipelineVersionE0EDF16_DF16_EELb0EEEvNT_8ArgumentE
                                        ; -- End function
	.set _ZN2ck27kernel_gemm_xdl_cshuffle_v1INS_43GridwiseGemm_k0mk1_k0nk1_mn_xdl_cshuffle_v1INS_13tensor_layout4gemm8RowMajorENS3_11ColumnMajorES4_NS_9f8_fnuz_tEDF16_fDF16_DF16_NS_16tensor_operation12element_wise11PassThroughES9_S9_LNS7_6device18GemmSpecializationE0ELNS_25InMemoryDataOperationEnumE0ELi1ELi256ELi256ELi128ELi32ELi8ELi8ELi16ELi16ELi8ELi2ENS_8SequenceIJLi4ELi64ELi1EEEENSD_IJLi1ELi0ELi2EEEESF_Li2ELi8ELi8ELb0ELi1ESE_SF_SF_Li2ELi8ELi8ELb0ELi1ELi1ELi1ENSD_IJLi1ELi32ELi1ELi8EEEELi4ELNS_13LoopSchedulerE0ELNS_15PipelineVersionE0EDF16_DF16_EELb0EEEvNT_8ArgumentE.num_vgpr, 96
	.set _ZN2ck27kernel_gemm_xdl_cshuffle_v1INS_43GridwiseGemm_k0mk1_k0nk1_mn_xdl_cshuffle_v1INS_13tensor_layout4gemm8RowMajorENS3_11ColumnMajorES4_NS_9f8_fnuz_tEDF16_fDF16_DF16_NS_16tensor_operation12element_wise11PassThroughES9_S9_LNS7_6device18GemmSpecializationE0ELNS_25InMemoryDataOperationEnumE0ELi1ELi256ELi256ELi128ELi32ELi8ELi8ELi16ELi16ELi8ELi2ENS_8SequenceIJLi4ELi64ELi1EEEENSD_IJLi1ELi0ELi2EEEESF_Li2ELi8ELi8ELb0ELi1ESE_SF_SF_Li2ELi8ELi8ELb0ELi1ELi1ELi1ENSD_IJLi1ELi32ELi1ELi8EEEELi4ELNS_13LoopSchedulerE0ELNS_15PipelineVersionE0EDF16_DF16_EELb0EEEvNT_8ArgumentE.num_agpr, 0
	.set _ZN2ck27kernel_gemm_xdl_cshuffle_v1INS_43GridwiseGemm_k0mk1_k0nk1_mn_xdl_cshuffle_v1INS_13tensor_layout4gemm8RowMajorENS3_11ColumnMajorES4_NS_9f8_fnuz_tEDF16_fDF16_DF16_NS_16tensor_operation12element_wise11PassThroughES9_S9_LNS7_6device18GemmSpecializationE0ELNS_25InMemoryDataOperationEnumE0ELi1ELi256ELi256ELi128ELi32ELi8ELi8ELi16ELi16ELi8ELi2ENS_8SequenceIJLi4ELi64ELi1EEEENSD_IJLi1ELi0ELi2EEEESF_Li2ELi8ELi8ELb0ELi1ESE_SF_SF_Li2ELi8ELi8ELb0ELi1ELi1ELi1ENSD_IJLi1ELi32ELi1ELi8EEEELi4ELNS_13LoopSchedulerE0ELNS_15PipelineVersionE0EDF16_DF16_EELb0EEEvNT_8ArgumentE.numbered_sgpr, 22
	.set _ZN2ck27kernel_gemm_xdl_cshuffle_v1INS_43GridwiseGemm_k0mk1_k0nk1_mn_xdl_cshuffle_v1INS_13tensor_layout4gemm8RowMajorENS3_11ColumnMajorES4_NS_9f8_fnuz_tEDF16_fDF16_DF16_NS_16tensor_operation12element_wise11PassThroughES9_S9_LNS7_6device18GemmSpecializationE0ELNS_25InMemoryDataOperationEnumE0ELi1ELi256ELi256ELi128ELi32ELi8ELi8ELi16ELi16ELi8ELi2ENS_8SequenceIJLi4ELi64ELi1EEEENSD_IJLi1ELi0ELi2EEEESF_Li2ELi8ELi8ELb0ELi1ESE_SF_SF_Li2ELi8ELi8ELb0ELi1ELi1ELi1ENSD_IJLi1ELi32ELi1ELi8EEEELi4ELNS_13LoopSchedulerE0ELNS_15PipelineVersionE0EDF16_DF16_EELb0EEEvNT_8ArgumentE.num_named_barrier, 0
	.set _ZN2ck27kernel_gemm_xdl_cshuffle_v1INS_43GridwiseGemm_k0mk1_k0nk1_mn_xdl_cshuffle_v1INS_13tensor_layout4gemm8RowMajorENS3_11ColumnMajorES4_NS_9f8_fnuz_tEDF16_fDF16_DF16_NS_16tensor_operation12element_wise11PassThroughES9_S9_LNS7_6device18GemmSpecializationE0ELNS_25InMemoryDataOperationEnumE0ELi1ELi256ELi256ELi128ELi32ELi8ELi8ELi16ELi16ELi8ELi2ENS_8SequenceIJLi4ELi64ELi1EEEENSD_IJLi1ELi0ELi2EEEESF_Li2ELi8ELi8ELb0ELi1ESE_SF_SF_Li2ELi8ELi8ELb0ELi1ELi1ELi1ENSD_IJLi1ELi32ELi1ELi8EEEELi4ELNS_13LoopSchedulerE0ELNS_15PipelineVersionE0EDF16_DF16_EELb0EEEvNT_8ArgumentE.private_seg_size, 0
	.set _ZN2ck27kernel_gemm_xdl_cshuffle_v1INS_43GridwiseGemm_k0mk1_k0nk1_mn_xdl_cshuffle_v1INS_13tensor_layout4gemm8RowMajorENS3_11ColumnMajorES4_NS_9f8_fnuz_tEDF16_fDF16_DF16_NS_16tensor_operation12element_wise11PassThroughES9_S9_LNS7_6device18GemmSpecializationE0ELNS_25InMemoryDataOperationEnumE0ELi1ELi256ELi256ELi128ELi32ELi8ELi8ELi16ELi16ELi8ELi2ENS_8SequenceIJLi4ELi64ELi1EEEENSD_IJLi1ELi0ELi2EEEESF_Li2ELi8ELi8ELb0ELi1ESE_SF_SF_Li2ELi8ELi8ELb0ELi1ELi1ELi1ENSD_IJLi1ELi32ELi1ELi8EEEELi4ELNS_13LoopSchedulerE0ELNS_15PipelineVersionE0EDF16_DF16_EELb0EEEvNT_8ArgumentE.uses_vcc, 1
	.set _ZN2ck27kernel_gemm_xdl_cshuffle_v1INS_43GridwiseGemm_k0mk1_k0nk1_mn_xdl_cshuffle_v1INS_13tensor_layout4gemm8RowMajorENS3_11ColumnMajorES4_NS_9f8_fnuz_tEDF16_fDF16_DF16_NS_16tensor_operation12element_wise11PassThroughES9_S9_LNS7_6device18GemmSpecializationE0ELNS_25InMemoryDataOperationEnumE0ELi1ELi256ELi256ELi128ELi32ELi8ELi8ELi16ELi16ELi8ELi2ENS_8SequenceIJLi4ELi64ELi1EEEENSD_IJLi1ELi0ELi2EEEESF_Li2ELi8ELi8ELb0ELi1ESE_SF_SF_Li2ELi8ELi8ELb0ELi1ELi1ELi1ENSD_IJLi1ELi32ELi1ELi8EEEELi4ELNS_13LoopSchedulerE0ELNS_15PipelineVersionE0EDF16_DF16_EELb0EEEvNT_8ArgumentE.uses_flat_scratch, 0
	.set _ZN2ck27kernel_gemm_xdl_cshuffle_v1INS_43GridwiseGemm_k0mk1_k0nk1_mn_xdl_cshuffle_v1INS_13tensor_layout4gemm8RowMajorENS3_11ColumnMajorES4_NS_9f8_fnuz_tEDF16_fDF16_DF16_NS_16tensor_operation12element_wise11PassThroughES9_S9_LNS7_6device18GemmSpecializationE0ELNS_25InMemoryDataOperationEnumE0ELi1ELi256ELi256ELi128ELi32ELi8ELi8ELi16ELi16ELi8ELi2ENS_8SequenceIJLi4ELi64ELi1EEEENSD_IJLi1ELi0ELi2EEEESF_Li2ELi8ELi8ELb0ELi1ESE_SF_SF_Li2ELi8ELi8ELb0ELi1ELi1ELi1ENSD_IJLi1ELi32ELi1ELi8EEEELi4ELNS_13LoopSchedulerE0ELNS_15PipelineVersionE0EDF16_DF16_EELb0EEEvNT_8ArgumentE.has_dyn_sized_stack, 0
	.set _ZN2ck27kernel_gemm_xdl_cshuffle_v1INS_43GridwiseGemm_k0mk1_k0nk1_mn_xdl_cshuffle_v1INS_13tensor_layout4gemm8RowMajorENS3_11ColumnMajorES4_NS_9f8_fnuz_tEDF16_fDF16_DF16_NS_16tensor_operation12element_wise11PassThroughES9_S9_LNS7_6device18GemmSpecializationE0ELNS_25InMemoryDataOperationEnumE0ELi1ELi256ELi256ELi128ELi32ELi8ELi8ELi16ELi16ELi8ELi2ENS_8SequenceIJLi4ELi64ELi1EEEENSD_IJLi1ELi0ELi2EEEESF_Li2ELi8ELi8ELb0ELi1ESE_SF_SF_Li2ELi8ELi8ELb0ELi1ELi1ELi1ENSD_IJLi1ELi32ELi1ELi8EEEELi4ELNS_13LoopSchedulerE0ELNS_15PipelineVersionE0EDF16_DF16_EELb0EEEvNT_8ArgumentE.has_recursion, 0
	.set _ZN2ck27kernel_gemm_xdl_cshuffle_v1INS_43GridwiseGemm_k0mk1_k0nk1_mn_xdl_cshuffle_v1INS_13tensor_layout4gemm8RowMajorENS3_11ColumnMajorES4_NS_9f8_fnuz_tEDF16_fDF16_DF16_NS_16tensor_operation12element_wise11PassThroughES9_S9_LNS7_6device18GemmSpecializationE0ELNS_25InMemoryDataOperationEnumE0ELi1ELi256ELi256ELi128ELi32ELi8ELi8ELi16ELi16ELi8ELi2ENS_8SequenceIJLi4ELi64ELi1EEEENSD_IJLi1ELi0ELi2EEEESF_Li2ELi8ELi8ELb0ELi1ESE_SF_SF_Li2ELi8ELi8ELb0ELi1ELi1ELi1ENSD_IJLi1ELi32ELi1ELi8EEEELi4ELNS_13LoopSchedulerE0ELNS_15PipelineVersionE0EDF16_DF16_EELb0EEEvNT_8ArgumentE.has_indirect_call, 0
	.section	.AMDGPU.csdata,"",@progbits
; Kernel info:
; codeLenInByte = 14380
; TotalNumSgprs: 24
; NumVgprs: 96
; ScratchSize: 0
; MemoryBound: 0
; FloatMode: 240
; IeeeMode: 1
; LDSByteSize: 24672 bytes/workgroup (compile time only)
; SGPRBlocks: 0
; VGPRBlocks: 15
; NumSGPRsForWavesPerEU: 24
; NumVGPRsForWavesPerEU: 121
; Occupancy: 10
; WaveLimiterHint : 0
; COMPUTE_PGM_RSRC2:SCRATCH_EN: 0
; COMPUTE_PGM_RSRC2:USER_SGPR: 2
; COMPUTE_PGM_RSRC2:TRAP_HANDLER: 0
; COMPUTE_PGM_RSRC2:TGID_X_EN: 1
; COMPUTE_PGM_RSRC2:TGID_Y_EN: 0
; COMPUTE_PGM_RSRC2:TGID_Z_EN: 0
; COMPUTE_PGM_RSRC2:TIDIG_COMP_CNT: 0
	.section	.text._ZN2ck17naive_gemm_kernelINS_13tensor_layout4gemm8RowMajorENS2_11ColumnMajorES3_NS_9f8_fnuz_tEDF16_DF16_fNS_16tensor_operation12element_wise11PassThroughES8_S8_DF16_DF16_EEvPKT2_PKT3_PT4_iiiT6_T7_T8_,"axG",@progbits,_ZN2ck17naive_gemm_kernelINS_13tensor_layout4gemm8RowMajorENS2_11ColumnMajorES3_NS_9f8_fnuz_tEDF16_DF16_fNS_16tensor_operation12element_wise11PassThroughES8_S8_DF16_DF16_EEvPKT2_PKT3_PT4_iiiT6_T7_T8_,comdat
	.protected	_ZN2ck17naive_gemm_kernelINS_13tensor_layout4gemm8RowMajorENS2_11ColumnMajorES3_NS_9f8_fnuz_tEDF16_DF16_fNS_16tensor_operation12element_wise11PassThroughES8_S8_DF16_DF16_EEvPKT2_PKT3_PT4_iiiT6_T7_T8_ ; -- Begin function _ZN2ck17naive_gemm_kernelINS_13tensor_layout4gemm8RowMajorENS2_11ColumnMajorES3_NS_9f8_fnuz_tEDF16_DF16_fNS_16tensor_operation12element_wise11PassThroughES8_S8_DF16_DF16_EEvPKT2_PKT3_PT4_iiiT6_T7_T8_
	.globl	_ZN2ck17naive_gemm_kernelINS_13tensor_layout4gemm8RowMajorENS2_11ColumnMajorES3_NS_9f8_fnuz_tEDF16_DF16_fNS_16tensor_operation12element_wise11PassThroughES8_S8_DF16_DF16_EEvPKT2_PKT3_PT4_iiiT6_T7_T8_
	.p2align	8
	.type	_ZN2ck17naive_gemm_kernelINS_13tensor_layout4gemm8RowMajorENS2_11ColumnMajorES3_NS_9f8_fnuz_tEDF16_DF16_fNS_16tensor_operation12element_wise11PassThroughES8_S8_DF16_DF16_EEvPKT2_PKT3_PT4_iiiT6_T7_T8_,@function
_ZN2ck17naive_gemm_kernelINS_13tensor_layout4gemm8RowMajorENS2_11ColumnMajorES3_NS_9f8_fnuz_tEDF16_DF16_fNS_16tensor_operation12element_wise11PassThroughES8_S8_DF16_DF16_EEvPKT2_PKT3_PT4_iiiT6_T7_T8_: ; @_ZN2ck17naive_gemm_kernelINS_13tensor_layout4gemm8RowMajorENS2_11ColumnMajorES3_NS_9f8_fnuz_tEDF16_DF16_fNS_16tensor_operation12element_wise11PassThroughES8_S8_DF16_DF16_EEvPKT2_PKT3_PT4_iiiT6_T7_T8_
; %bb.0:
	s_clause 0x1
	s_load_b32 s2, s[0:1], 0x34
	s_load_b96 s[4:6], s[0:1], 0x18
	v_and_b32_e32 v1, 0x3ff, v0
	v_bfe_u32 v2, v0, 10, 10
	s_wait_kmcnt 0x0
	s_lshr_b32 s3, s2, 16
	s_and_b32 s2, s2, 0xffff
	s_delay_alu instid0(VALU_DEP_1) | instid1(SALU_CYCLE_1)
	v_mad_co_u64_u32 v[0:1], null, ttmp9, s2, v[1:2]
	v_mad_co_u64_u32 v[1:2], null, ttmp7, s3, v[2:3]
	s_delay_alu instid0(VALU_DEP_2) | instskip(NEXT) | instid1(VALU_DEP_2)
	v_cmp_gt_i32_e32 vcc_lo, s4, v0
	v_cmp_gt_i32_e64 s2, s5, v1
	s_and_b32 s2, vcc_lo, s2
	s_wait_alu 0xfffe
	s_and_saveexec_b32 s3, s2
	s_cbranch_execz .LBB5_15
; %bb.1:
	s_load_b64 s[8:9], s[0:1], 0x10
	s_cmp_lt_i32 s6, 1
	s_cbranch_scc1 .LBB5_13
; %bb.2:
	s_load_b128 s[0:3], s[0:1], 0x0
	v_mul_lo_u32 v3, v0, s6
	v_mul_lo_u32 v2, v1, s6
	v_mov_b32_e32 v6, 0
	s_delay_alu instid0(VALU_DEP_3) | instskip(SKIP_2) | instid1(VALU_DEP_1)
	v_ashrrev_i32_e32 v5, 31, v3
	s_wait_kmcnt 0x0
	v_add_co_u32 v4, vcc_lo, s0, v3
	v_add_co_ci_u32_e64 v5, null, s1, v5, vcc_lo
	s_branch .LBB5_4
.LBB5_3:                                ;   in Loop: Header=BB5_4 Depth=1
	s_wait_alu 0xfffe
	s_or_b32 exec_lo, exec_lo, s0
	v_ashrrev_i32_e32 v3, 31, v2
	s_add_co_i32 s6, s6, -1
	s_wait_alu 0xfffe
	s_cmp_eq_u32 s6, 0
	s_delay_alu instid0(VALU_DEP_1) | instskip(SKIP_1) | instid1(VALU_DEP_2)
	v_lshlrev_b64_e32 v[8:9], 1, v[2:3]
	v_add_nc_u32_e32 v2, 1, v2
	v_add_co_u32 v8, vcc_lo, s2, v8
	s_wait_alu 0xfffd
	s_delay_alu instid0(VALU_DEP_3)
	v_add_co_ci_u32_e64 v9, null, s3, v9, vcc_lo
	v_add_co_u32 v4, vcc_lo, v4, 1
	s_wait_alu 0xfffd
	v_add_co_ci_u32_e64 v5, null, 0, v5, vcc_lo
	global_load_u16 v3, v[8:9], off
	s_wait_loadcnt 0x0
	v_fma_mix_f32 v6, v7, v3, v6 op_sel_hi:[0,1,0]
	s_cbranch_scc1 .LBB5_12
.LBB5_4:                                ; =>This Inner Loop Header: Depth=1
	global_load_u8 v3, v[4:5], off
	s_mov_b32 s1, 0
	s_mov_b32 s0, exec_lo
	s_wait_loadcnt 0x0
	v_cmpx_lt_i16_e32 0x7f, v3
	s_wait_alu 0xfffe
	s_xor_b32 s0, exec_lo, s0
	s_cbranch_execnz .LBB5_7
; %bb.5:                                ;   in Loop: Header=BB5_4 Depth=1
	s_wait_alu 0xfffe
	s_or_saveexec_b32 s0, s0
	v_mov_b32_e32 v7, 0x7fc02000
	s_wait_alu 0xfffe
	s_xor_b32 exec_lo, exec_lo, s0
	s_cbranch_execnz .LBB5_10
.LBB5_6:                                ;   in Loop: Header=BB5_4 Depth=1
	s_or_b32 exec_lo, exec_lo, s0
	s_and_saveexec_b32 s0, s1
	s_cbranch_execz .LBB5_3
	s_branch .LBB5_11
.LBB5_7:                                ;   in Loop: Header=BB5_4 Depth=1
	s_mov_b32 s1, -1
	s_mov_b32 s4, exec_lo
	v_cmpx_eq_u16_e32 0x80, v3
; %bb.8:                                ;   in Loop: Header=BB5_4 Depth=1
	s_xor_b32 s1, exec_lo, -1
; %bb.9:                                ;   in Loop: Header=BB5_4 Depth=1
	s_wait_alu 0xfffe
	s_or_b32 exec_lo, exec_lo, s4
	s_delay_alu instid0(SALU_CYCLE_1)
	s_and_b32 s1, s1, exec_lo
	s_or_saveexec_b32 s0, s0
	v_mov_b32_e32 v7, 0x7fc02000
	s_wait_alu 0xfffe
	s_xor_b32 exec_lo, exec_lo, s0
	s_cbranch_execz .LBB5_6
.LBB5_10:                               ;   in Loop: Header=BB5_4 Depth=1
	v_cmp_ne_u16_e32 vcc_lo, 0, v3
	v_mov_b32_e32 v7, 0
	s_and_not1_b32 s1, s1, exec_lo
	s_and_b32 s4, vcc_lo, exec_lo
	s_wait_alu 0xfffe
	s_or_b32 s1, s1, s4
	s_or_b32 exec_lo, exec_lo, s0
	s_wait_alu 0xfffe
	s_and_saveexec_b32 s0, s1
	s_cbranch_execz .LBB5_3
.LBB5_11:                               ;   in Loop: Header=BB5_4 Depth=1
	v_lshrrev_b16 v9, 3, v3
	s_delay_alu instid0(VALU_DEP_1) | instskip(NEXT) | instid1(VALU_DEP_1)
	v_and_b32_e32 v9, 15, v9
	v_and_b32_e32 v11, 0xffff, v9
	v_cmp_eq_u16_e32 vcc_lo, 0, v9
	v_and_b32_e32 v7, 7, v3
	v_lshrrev_b16 v3, 7, v3
	s_delay_alu instid0(VALU_DEP_2) | instskip(NEXT) | instid1(VALU_DEP_2)
	v_clz_i32_u32_e32 v8, v7
	v_lshlrev_b32_e32 v3, 15, v3
	s_delay_alu instid0(VALU_DEP_2) | instskip(NEXT) | instid1(VALU_DEP_1)
	v_min_u32_e32 v8, 32, v8
	v_subrev_nc_u32_e32 v10, 28, v8
	v_sub_nc_u32_e32 v8, 29, v8
	s_wait_alu 0xfffd
	s_delay_alu instid0(VALU_DEP_1) | instskip(NEXT) | instid1(VALU_DEP_3)
	v_cndmask_b32_e32 v8, v11, v8, vcc_lo
	v_lshlrev_b32_e32 v10, v10, v7
	s_delay_alu instid0(VALU_DEP_2) | instskip(NEXT) | instid1(VALU_DEP_2)
	v_lshl_add_u32 v8, v8, 10, 0x1c00
	v_and_b32_e32 v10, 7, v10
	s_delay_alu instid0(VALU_DEP_1) | instskip(NEXT) | instid1(VALU_DEP_1)
	v_cndmask_b32_e32 v7, v7, v10, vcc_lo
	v_lshlrev_b32_e32 v7, 7, v7
	s_delay_alu instid0(VALU_DEP_1) | instskip(NEXT) | instid1(VALU_DEP_1)
	v_or3_b32 v3, v3, v8, v7
	v_cvt_f32_f16_e32 v7, v3
	s_branch .LBB5_3
.LBB5_12:
	s_delay_alu instid0(VALU_DEP_1)
	v_cvt_f16_f32_e32 v2, v6
	s_branch .LBB5_14
.LBB5_13:
	v_mov_b32_e32 v2, 0
.LBB5_14:
	s_delay_alu instid0(VALU_DEP_1) | instskip(NEXT) | instid1(VALU_DEP_1)
	v_mad_co_u64_u32 v[0:1], null, v0, s5, v[1:2]
	v_ashrrev_i32_e32 v1, 31, v0
	s_delay_alu instid0(VALU_DEP_1) | instskip(SKIP_1) | instid1(VALU_DEP_1)
	v_lshlrev_b64_e32 v[0:1], 1, v[0:1]
	s_wait_kmcnt 0x0
	v_add_co_u32 v0, vcc_lo, s8, v0
	s_wait_alu 0xfffd
	s_delay_alu instid0(VALU_DEP_2)
	v_add_co_ci_u32_e64 v1, null, s9, v1, vcc_lo
	global_store_b16 v[0:1], v2, off
.LBB5_15:
	s_endpgm
	.section	.rodata,"a",@progbits
	.p2align	6, 0x0
	.amdhsa_kernel _ZN2ck17naive_gemm_kernelINS_13tensor_layout4gemm8RowMajorENS2_11ColumnMajorES3_NS_9f8_fnuz_tEDF16_DF16_fNS_16tensor_operation12element_wise11PassThroughES8_S8_DF16_DF16_EEvPKT2_PKT3_PT4_iiiT6_T7_T8_
		.amdhsa_group_segment_fixed_size 0
		.amdhsa_private_segment_fixed_size 0
		.amdhsa_kernarg_size 296
		.amdhsa_user_sgpr_count 2
		.amdhsa_user_sgpr_dispatch_ptr 0
		.amdhsa_user_sgpr_queue_ptr 0
		.amdhsa_user_sgpr_kernarg_segment_ptr 1
		.amdhsa_user_sgpr_dispatch_id 0
		.amdhsa_user_sgpr_private_segment_size 0
		.amdhsa_wavefront_size32 1
		.amdhsa_uses_dynamic_stack 0
		.amdhsa_enable_private_segment 0
		.amdhsa_system_sgpr_workgroup_id_x 1
		.amdhsa_system_sgpr_workgroup_id_y 1
		.amdhsa_system_sgpr_workgroup_id_z 0
		.amdhsa_system_sgpr_workgroup_info 0
		.amdhsa_system_vgpr_workitem_id 1
		.amdhsa_next_free_vgpr 12
		.amdhsa_next_free_sgpr 10
		.amdhsa_reserve_vcc 1
		.amdhsa_float_round_mode_32 0
		.amdhsa_float_round_mode_16_64 0
		.amdhsa_float_denorm_mode_32 3
		.amdhsa_float_denorm_mode_16_64 3
		.amdhsa_fp16_overflow 0
		.amdhsa_workgroup_processor_mode 1
		.amdhsa_memory_ordered 1
		.amdhsa_forward_progress 1
		.amdhsa_inst_pref_size 6
		.amdhsa_round_robin_scheduling 0
		.amdhsa_exception_fp_ieee_invalid_op 0
		.amdhsa_exception_fp_denorm_src 0
		.amdhsa_exception_fp_ieee_div_zero 0
		.amdhsa_exception_fp_ieee_overflow 0
		.amdhsa_exception_fp_ieee_underflow 0
		.amdhsa_exception_fp_ieee_inexact 0
		.amdhsa_exception_int_div_zero 0
	.end_amdhsa_kernel
	.section	.text._ZN2ck17naive_gemm_kernelINS_13tensor_layout4gemm8RowMajorENS2_11ColumnMajorES3_NS_9f8_fnuz_tEDF16_DF16_fNS_16tensor_operation12element_wise11PassThroughES8_S8_DF16_DF16_EEvPKT2_PKT3_PT4_iiiT6_T7_T8_,"axG",@progbits,_ZN2ck17naive_gemm_kernelINS_13tensor_layout4gemm8RowMajorENS2_11ColumnMajorES3_NS_9f8_fnuz_tEDF16_DF16_fNS_16tensor_operation12element_wise11PassThroughES8_S8_DF16_DF16_EEvPKT2_PKT3_PT4_iiiT6_T7_T8_,comdat
.Lfunc_end5:
	.size	_ZN2ck17naive_gemm_kernelINS_13tensor_layout4gemm8RowMajorENS2_11ColumnMajorES3_NS_9f8_fnuz_tEDF16_DF16_fNS_16tensor_operation12element_wise11PassThroughES8_S8_DF16_DF16_EEvPKT2_PKT3_PT4_iiiT6_T7_T8_, .Lfunc_end5-_ZN2ck17naive_gemm_kernelINS_13tensor_layout4gemm8RowMajorENS2_11ColumnMajorES3_NS_9f8_fnuz_tEDF16_DF16_fNS_16tensor_operation12element_wise11PassThroughES8_S8_DF16_DF16_EEvPKT2_PKT3_PT4_iiiT6_T7_T8_
                                        ; -- End function
	.set _ZN2ck17naive_gemm_kernelINS_13tensor_layout4gemm8RowMajorENS2_11ColumnMajorES3_NS_9f8_fnuz_tEDF16_DF16_fNS_16tensor_operation12element_wise11PassThroughES8_S8_DF16_DF16_EEvPKT2_PKT3_PT4_iiiT6_T7_T8_.num_vgpr, 12
	.set _ZN2ck17naive_gemm_kernelINS_13tensor_layout4gemm8RowMajorENS2_11ColumnMajorES3_NS_9f8_fnuz_tEDF16_DF16_fNS_16tensor_operation12element_wise11PassThroughES8_S8_DF16_DF16_EEvPKT2_PKT3_PT4_iiiT6_T7_T8_.num_agpr, 0
	.set _ZN2ck17naive_gemm_kernelINS_13tensor_layout4gemm8RowMajorENS2_11ColumnMajorES3_NS_9f8_fnuz_tEDF16_DF16_fNS_16tensor_operation12element_wise11PassThroughES8_S8_DF16_DF16_EEvPKT2_PKT3_PT4_iiiT6_T7_T8_.numbered_sgpr, 10
	.set _ZN2ck17naive_gemm_kernelINS_13tensor_layout4gemm8RowMajorENS2_11ColumnMajorES3_NS_9f8_fnuz_tEDF16_DF16_fNS_16tensor_operation12element_wise11PassThroughES8_S8_DF16_DF16_EEvPKT2_PKT3_PT4_iiiT6_T7_T8_.num_named_barrier, 0
	.set _ZN2ck17naive_gemm_kernelINS_13tensor_layout4gemm8RowMajorENS2_11ColumnMajorES3_NS_9f8_fnuz_tEDF16_DF16_fNS_16tensor_operation12element_wise11PassThroughES8_S8_DF16_DF16_EEvPKT2_PKT3_PT4_iiiT6_T7_T8_.private_seg_size, 0
	.set _ZN2ck17naive_gemm_kernelINS_13tensor_layout4gemm8RowMajorENS2_11ColumnMajorES3_NS_9f8_fnuz_tEDF16_DF16_fNS_16tensor_operation12element_wise11PassThroughES8_S8_DF16_DF16_EEvPKT2_PKT3_PT4_iiiT6_T7_T8_.uses_vcc, 1
	.set _ZN2ck17naive_gemm_kernelINS_13tensor_layout4gemm8RowMajorENS2_11ColumnMajorES3_NS_9f8_fnuz_tEDF16_DF16_fNS_16tensor_operation12element_wise11PassThroughES8_S8_DF16_DF16_EEvPKT2_PKT3_PT4_iiiT6_T7_T8_.uses_flat_scratch, 0
	.set _ZN2ck17naive_gemm_kernelINS_13tensor_layout4gemm8RowMajorENS2_11ColumnMajorES3_NS_9f8_fnuz_tEDF16_DF16_fNS_16tensor_operation12element_wise11PassThroughES8_S8_DF16_DF16_EEvPKT2_PKT3_PT4_iiiT6_T7_T8_.has_dyn_sized_stack, 0
	.set _ZN2ck17naive_gemm_kernelINS_13tensor_layout4gemm8RowMajorENS2_11ColumnMajorES3_NS_9f8_fnuz_tEDF16_DF16_fNS_16tensor_operation12element_wise11PassThroughES8_S8_DF16_DF16_EEvPKT2_PKT3_PT4_iiiT6_T7_T8_.has_recursion, 0
	.set _ZN2ck17naive_gemm_kernelINS_13tensor_layout4gemm8RowMajorENS2_11ColumnMajorES3_NS_9f8_fnuz_tEDF16_DF16_fNS_16tensor_operation12element_wise11PassThroughES8_S8_DF16_DF16_EEvPKT2_PKT3_PT4_iiiT6_T7_T8_.has_indirect_call, 0
	.section	.AMDGPU.csdata,"",@progbits
; Kernel info:
; codeLenInByte = 696
; TotalNumSgprs: 12
; NumVgprs: 12
; ScratchSize: 0
; MemoryBound: 0
; FloatMode: 240
; IeeeMode: 1
; LDSByteSize: 0 bytes/workgroup (compile time only)
; SGPRBlocks: 0
; VGPRBlocks: 1
; NumSGPRsForWavesPerEU: 12
; NumVGPRsForWavesPerEU: 12
; Occupancy: 16
; WaveLimiterHint : 0
; COMPUTE_PGM_RSRC2:SCRATCH_EN: 0
; COMPUTE_PGM_RSRC2:USER_SGPR: 2
; COMPUTE_PGM_RSRC2:TRAP_HANDLER: 0
; COMPUTE_PGM_RSRC2:TGID_X_EN: 1
; COMPUTE_PGM_RSRC2:TGID_Y_EN: 1
; COMPUTE_PGM_RSRC2:TGID_Z_EN: 0
; COMPUTE_PGM_RSRC2:TIDIG_COMP_CNT: 1
	.section	.AMDGPU.gpr_maximums,"",@progbits
	.set amdgpu.max_num_vgpr, 0
	.set amdgpu.max_num_agpr, 0
	.set amdgpu.max_num_sgpr, 0
	.section	.AMDGPU.csdata,"",@progbits
	.type	__hip_cuid_21ed583b4e308eb0,@object ; @__hip_cuid_21ed583b4e308eb0
	.section	.bss,"aw",@nobits
	.globl	__hip_cuid_21ed583b4e308eb0
__hip_cuid_21ed583b4e308eb0:
	.byte	0                               ; 0x0
	.size	__hip_cuid_21ed583b4e308eb0, 1

	.ident	"AMD clang version 22.0.0git (https://github.com/RadeonOpenCompute/llvm-project roc-7.2.4 26084 f58b06dce1f9c15707c5f808fd002e18c2accf7e)"
	.section	".note.GNU-stack","",@progbits
	.addrsig
	.addrsig_sym __hip_cuid_21ed583b4e308eb0
	.amdgpu_metadata
---
amdhsa.kernels:
  - .args:           []
    .group_segment_fixed_size: 0
    .kernarg_segment_align: 4
    .kernarg_segment_size: 0
    .language:       OpenCL C
    .language_version:
      - 2
      - 0
    .max_flat_workgroup_size: 1024
    .name:           _ZN2ckL12flush_icacheEv
    .private_segment_fixed_size: 0
    .sgpr_count:     0
    .sgpr_spill_count: 0
    .symbol:         _ZN2ckL12flush_icacheEv.kd
    .uniform_work_group_size: 1
    .uses_dynamic_stack: false
    .vgpr_count:     0
    .vgpr_spill_count: 0
    .wavefront_size: 32
    .workgroup_processor_mode: 1
  - .args:
      - .offset:         0
        .size:           96
        .value_kind:     by_value
    .group_segment_fixed_size: 0
    .kernarg_segment_align: 8
    .kernarg_segment_size: 96
    .language:       OpenCL C
    .language_version:
      - 2
      - 0
    .max_flat_workgroup_size: 256
    .name:           _ZN2ck27kernel_gemm_xdl_cshuffle_v1INS_43GridwiseGemm_k0mk1_k0nk1_mn_xdl_cshuffle_v1INS_13tensor_layout4gemm8RowMajorENS3_11ColumnMajorES4_NS_9f8_fnuz_tEDF16_fDF16_DF16_NS_16tensor_operation12element_wise11PassThroughES9_S9_LNS7_6device18GemmSpecializationE0ELNS_25InMemoryDataOperationEnumE0ELi1ELi256ELi256ELi128ELi32ELi8ELi8ELi16ELi16ELi8ELi4ENS_8SequenceIJLi4ELi64ELi1EEEENSD_IJLi1ELi0ELi2EEEESF_Li2ELi8ELi8ELb0ELi1ESE_SF_SF_Li2ELi8ELi8ELb0ELi1ELi1ELi1ENSD_IJLi1ELi32ELi1ELi8EEEELi4ELNS_13LoopSchedulerE0ELNS_15PipelineVersionE0EDF16_DF16_EELb1EEEvNT_8ArgumentE
    .private_segment_fixed_size: 0
    .sgpr_count:     0
    .sgpr_spill_count: 0
    .symbol:         _ZN2ck27kernel_gemm_xdl_cshuffle_v1INS_43GridwiseGemm_k0mk1_k0nk1_mn_xdl_cshuffle_v1INS_13tensor_layout4gemm8RowMajorENS3_11ColumnMajorES4_NS_9f8_fnuz_tEDF16_fDF16_DF16_NS_16tensor_operation12element_wise11PassThroughES9_S9_LNS7_6device18GemmSpecializationE0ELNS_25InMemoryDataOperationEnumE0ELi1ELi256ELi256ELi128ELi32ELi8ELi8ELi16ELi16ELi8ELi4ENS_8SequenceIJLi4ELi64ELi1EEEENSD_IJLi1ELi0ELi2EEEESF_Li2ELi8ELi8ELb0ELi1ESE_SF_SF_Li2ELi8ELi8ELb0ELi1ELi1ELi1ENSD_IJLi1ELi32ELi1ELi8EEEELi4ELNS_13LoopSchedulerE0ELNS_15PipelineVersionE0EDF16_DF16_EELb1EEEvNT_8ArgumentE.kd
    .uniform_work_group_size: 1
    .uses_dynamic_stack: false
    .vgpr_count:     0
    .vgpr_spill_count: 0
    .wavefront_size: 32
    .workgroup_processor_mode: 1
  - .args:
      - .offset:         0
        .size:           96
        .value_kind:     by_value
    .group_segment_fixed_size: 0
    .kernarg_segment_align: 8
    .kernarg_segment_size: 96
    .language:       OpenCL C
    .language_version:
      - 2
      - 0
    .max_flat_workgroup_size: 256
    .name:           _ZN2ck27kernel_gemm_xdl_cshuffle_v1INS_43GridwiseGemm_k0mk1_k0nk1_mn_xdl_cshuffle_v1INS_13tensor_layout4gemm8RowMajorENS3_11ColumnMajorES4_NS_9f8_fnuz_tEDF16_fDF16_DF16_NS_16tensor_operation12element_wise11PassThroughES9_S9_LNS7_6device18GemmSpecializationE0ELNS_25InMemoryDataOperationEnumE0ELi1ELi256ELi256ELi128ELi32ELi8ELi8ELi16ELi16ELi8ELi4ENS_8SequenceIJLi4ELi64ELi1EEEENSD_IJLi1ELi0ELi2EEEESF_Li2ELi8ELi8ELb0ELi1ESE_SF_SF_Li2ELi8ELi8ELb0ELi1ELi1ELi1ENSD_IJLi1ELi32ELi1ELi8EEEELi4ELNS_13LoopSchedulerE0ELNS_15PipelineVersionE0EDF16_DF16_EELb0EEEvNT_8ArgumentE
    .private_segment_fixed_size: 0
    .sgpr_count:     0
    .sgpr_spill_count: 0
    .symbol:         _ZN2ck27kernel_gemm_xdl_cshuffle_v1INS_43GridwiseGemm_k0mk1_k0nk1_mn_xdl_cshuffle_v1INS_13tensor_layout4gemm8RowMajorENS3_11ColumnMajorES4_NS_9f8_fnuz_tEDF16_fDF16_DF16_NS_16tensor_operation12element_wise11PassThroughES9_S9_LNS7_6device18GemmSpecializationE0ELNS_25InMemoryDataOperationEnumE0ELi1ELi256ELi256ELi128ELi32ELi8ELi8ELi16ELi16ELi8ELi4ENS_8SequenceIJLi4ELi64ELi1EEEENSD_IJLi1ELi0ELi2EEEESF_Li2ELi8ELi8ELb0ELi1ESE_SF_SF_Li2ELi8ELi8ELb0ELi1ELi1ELi1ENSD_IJLi1ELi32ELi1ELi8EEEELi4ELNS_13LoopSchedulerE0ELNS_15PipelineVersionE0EDF16_DF16_EELb0EEEvNT_8ArgumentE.kd
    .uniform_work_group_size: 1
    .uses_dynamic_stack: false
    .vgpr_count:     0
    .vgpr_spill_count: 0
    .wavefront_size: 32
    .workgroup_processor_mode: 1
  - .args:
      - .offset:         0
        .size:           96
        .value_kind:     by_value
    .group_segment_fixed_size: 24672
    .kernarg_segment_align: 8
    .kernarg_segment_size: 96
    .language:       OpenCL C
    .language_version:
      - 2
      - 0
    .max_flat_workgroup_size: 256
    .name:           _ZN2ck27kernel_gemm_xdl_cshuffle_v1INS_43GridwiseGemm_k0mk1_k0nk1_mn_xdl_cshuffle_v1INS_13tensor_layout4gemm8RowMajorENS3_11ColumnMajorES4_NS_9f8_fnuz_tEDF16_fDF16_DF16_NS_16tensor_operation12element_wise11PassThroughES9_S9_LNS7_6device18GemmSpecializationE0ELNS_25InMemoryDataOperationEnumE0ELi1ELi256ELi256ELi128ELi32ELi8ELi8ELi16ELi16ELi8ELi2ENS_8SequenceIJLi4ELi64ELi1EEEENSD_IJLi1ELi0ELi2EEEESF_Li2ELi8ELi8ELb0ELi1ESE_SF_SF_Li2ELi8ELi8ELb0ELi1ELi1ELi1ENSD_IJLi1ELi32ELi1ELi8EEEELi4ELNS_13LoopSchedulerE0ELNS_15PipelineVersionE0EDF16_DF16_EELb1EEEvNT_8ArgumentE
    .private_segment_fixed_size: 0
    .sgpr_count:     31
    .sgpr_spill_count: 0
    .symbol:         _ZN2ck27kernel_gemm_xdl_cshuffle_v1INS_43GridwiseGemm_k0mk1_k0nk1_mn_xdl_cshuffle_v1INS_13tensor_layout4gemm8RowMajorENS3_11ColumnMajorES4_NS_9f8_fnuz_tEDF16_fDF16_DF16_NS_16tensor_operation12element_wise11PassThroughES9_S9_LNS7_6device18GemmSpecializationE0ELNS_25InMemoryDataOperationEnumE0ELi1ELi256ELi256ELi128ELi32ELi8ELi8ELi16ELi16ELi8ELi2ENS_8SequenceIJLi4ELi64ELi1EEEENSD_IJLi1ELi0ELi2EEEESF_Li2ELi8ELi8ELb0ELi1ESE_SF_SF_Li2ELi8ELi8ELb0ELi1ELi1ELi1ENSD_IJLi1ELi32ELi1ELi8EEEELi4ELNS_13LoopSchedulerE0ELNS_15PipelineVersionE0EDF16_DF16_EELb1EEEvNT_8ArgumentE.kd
    .uniform_work_group_size: 1
    .uses_dynamic_stack: false
    .vgpr_count:     224
    .vgpr_spill_count: 0
    .wavefront_size: 32
    .workgroup_processor_mode: 1
  - .args:
      - .offset:         0
        .size:           96
        .value_kind:     by_value
    .group_segment_fixed_size: 24672
    .kernarg_segment_align: 8
    .kernarg_segment_size: 96
    .language:       OpenCL C
    .language_version:
      - 2
      - 0
    .max_flat_workgroup_size: 256
    .name:           _ZN2ck27kernel_gemm_xdl_cshuffle_v1INS_43GridwiseGemm_k0mk1_k0nk1_mn_xdl_cshuffle_v1INS_13tensor_layout4gemm8RowMajorENS3_11ColumnMajorES4_NS_9f8_fnuz_tEDF16_fDF16_DF16_NS_16tensor_operation12element_wise11PassThroughES9_S9_LNS7_6device18GemmSpecializationE0ELNS_25InMemoryDataOperationEnumE0ELi1ELi256ELi256ELi128ELi32ELi8ELi8ELi16ELi16ELi8ELi2ENS_8SequenceIJLi4ELi64ELi1EEEENSD_IJLi1ELi0ELi2EEEESF_Li2ELi8ELi8ELb0ELi1ESE_SF_SF_Li2ELi8ELi8ELb0ELi1ELi1ELi1ENSD_IJLi1ELi32ELi1ELi8EEEELi4ELNS_13LoopSchedulerE0ELNS_15PipelineVersionE0EDF16_DF16_EELb0EEEvNT_8ArgumentE
    .private_segment_fixed_size: 0
    .sgpr_count:     24
    .sgpr_spill_count: 0
    .symbol:         _ZN2ck27kernel_gemm_xdl_cshuffle_v1INS_43GridwiseGemm_k0mk1_k0nk1_mn_xdl_cshuffle_v1INS_13tensor_layout4gemm8RowMajorENS3_11ColumnMajorES4_NS_9f8_fnuz_tEDF16_fDF16_DF16_NS_16tensor_operation12element_wise11PassThroughES9_S9_LNS7_6device18GemmSpecializationE0ELNS_25InMemoryDataOperationEnumE0ELi1ELi256ELi256ELi128ELi32ELi8ELi8ELi16ELi16ELi8ELi2ENS_8SequenceIJLi4ELi64ELi1EEEENSD_IJLi1ELi0ELi2EEEESF_Li2ELi8ELi8ELb0ELi1ESE_SF_SF_Li2ELi8ELi8ELb0ELi1ELi1ELi1ENSD_IJLi1ELi32ELi1ELi8EEEELi4ELNS_13LoopSchedulerE0ELNS_15PipelineVersionE0EDF16_DF16_EELb0EEEvNT_8ArgumentE.kd
    .uniform_work_group_size: 1
    .uses_dynamic_stack: false
    .vgpr_count:     96
    .vgpr_spill_count: 0
    .wavefront_size: 32
    .workgroup_processor_mode: 1
  - .args:
      - .actual_access:  read_only
        .address_space:  global
        .offset:         0
        .size:           8
        .value_kind:     global_buffer
      - .actual_access:  read_only
        .address_space:  global
        .offset:         8
        .size:           8
        .value_kind:     global_buffer
      - .actual_access:  write_only
        .address_space:  global
        .offset:         16
        .size:           8
        .value_kind:     global_buffer
      - .offset:         24
        .size:           4
        .value_kind:     by_value
      - .offset:         28
        .size:           4
        .value_kind:     by_value
      - .offset:         32
        .size:           4
        .value_kind:     by_value
      - .offset:         36
        .size:           1
        .value_kind:     by_value
      - .offset:         37
        .size:           1
        .value_kind:     by_value
      - .offset:         38
        .size:           1
        .value_kind:     by_value
      - .offset:         40
        .size:           4
        .value_kind:     hidden_block_count_x
      - .offset:         44
        .size:           4
        .value_kind:     hidden_block_count_y
      - .offset:         48
        .size:           4
        .value_kind:     hidden_block_count_z
      - .offset:         52
        .size:           2
        .value_kind:     hidden_group_size_x
      - .offset:         54
        .size:           2
        .value_kind:     hidden_group_size_y
      - .offset:         56
        .size:           2
        .value_kind:     hidden_group_size_z
      - .offset:         58
        .size:           2
        .value_kind:     hidden_remainder_x
      - .offset:         60
        .size:           2
        .value_kind:     hidden_remainder_y
      - .offset:         62
        .size:           2
        .value_kind:     hidden_remainder_z
      - .offset:         80
        .size:           8
        .value_kind:     hidden_global_offset_x
      - .offset:         88
        .size:           8
        .value_kind:     hidden_global_offset_y
      - .offset:         96
        .size:           8
        .value_kind:     hidden_global_offset_z
      - .offset:         104
        .size:           2
        .value_kind:     hidden_grid_dims
    .group_segment_fixed_size: 0
    .kernarg_segment_align: 8
    .kernarg_segment_size: 296
    .language:       OpenCL C
    .language_version:
      - 2
      - 0
    .max_flat_workgroup_size: 256
    .name:           _ZN2ck17naive_gemm_kernelINS_13tensor_layout4gemm8RowMajorENS2_11ColumnMajorES3_NS_9f8_fnuz_tEDF16_DF16_fNS_16tensor_operation12element_wise11PassThroughES8_S8_DF16_DF16_EEvPKT2_PKT3_PT4_iiiT6_T7_T8_
    .private_segment_fixed_size: 0
    .sgpr_count:     12
    .sgpr_spill_count: 0
    .symbol:         _ZN2ck17naive_gemm_kernelINS_13tensor_layout4gemm8RowMajorENS2_11ColumnMajorES3_NS_9f8_fnuz_tEDF16_DF16_fNS_16tensor_operation12element_wise11PassThroughES8_S8_DF16_DF16_EEvPKT2_PKT3_PT4_iiiT6_T7_T8_.kd
    .uniform_work_group_size: 1
    .uses_dynamic_stack: false
    .vgpr_count:     12
    .vgpr_spill_count: 0
    .wavefront_size: 32
    .workgroup_processor_mode: 1
amdhsa.target:   amdgcn-amd-amdhsa--gfx1201
amdhsa.version:
  - 1
  - 2
...

	.end_amdgpu_metadata
